;; amdgpu-corpus repo=ROCm/rocFFT kind=compiled arch=gfx1030 opt=O3
	.text
	.amdgcn_target "amdgcn-amd-amdhsa--gfx1030"
	.amdhsa_code_object_version 6
	.protected	bluestein_single_back_len1309_dim1_sp_op_CI_CI ; -- Begin function bluestein_single_back_len1309_dim1_sp_op_CI_CI
	.globl	bluestein_single_back_len1309_dim1_sp_op_CI_CI
	.p2align	8
	.type	bluestein_single_back_len1309_dim1_sp_op_CI_CI,@function
bluestein_single_back_len1309_dim1_sp_op_CI_CI: ; @bluestein_single_back_len1309_dim1_sp_op_CI_CI
; %bb.0:
	s_load_dwordx4 s[0:3], s[4:5], 0x28
	v_mul_u32_u24_e32 v1, 0x227, v0
	v_mov_b32_e32 v89, 0
	v_lshrrev_b32_e32 v1, 16, v1
	v_add_nc_u32_e32 v88, s6, v1
	s_waitcnt lgkmcnt(0)
	v_cmp_gt_u64_e32 vcc_lo, s[0:1], v[88:89]
	s_and_saveexec_b32 s0, vcc_lo
	s_cbranch_execz .LBB0_23
; %bb.1:
	s_clause 0x1
	s_load_dwordx2 s[12:13], s[4:5], 0x0
	s_load_dwordx2 s[14:15], s[4:5], 0x38
	v_mul_lo_u16 v1, 0x77, v1
	v_sub_nc_u16 v0, v0, v1
	v_and_b32_e32 v98, 0xffff, v0
	v_cmp_gt_u16_e32 vcc_lo, 0x4d, v0
	v_lshlrev_b32_e32 v97, 3, v98
	s_and_saveexec_b32 s1, vcc_lo
	s_cbranch_execz .LBB0_3
; %bb.2:
	s_load_dwordx2 s[6:7], s[4:5], 0x18
	s_waitcnt lgkmcnt(0)
	v_add_co_u32 v20, s0, s12, v97
	v_add_co_ci_u32_e64 v21, null, s13, 0, s0
	v_add_nc_u32_e32 v70, 0x800, v97
	v_add_co_u32 v12, s0, 0x800, v20
	v_add_co_ci_u32_e64 v13, s0, 0, v21, s0
	v_add_nc_u32_e32 v71, 0xc00, v97
	v_add_nc_u32_e32 v72, 0x1000, v97
	;; [unrolled: 1-line block ×4, first 2 shown]
	s_load_dwordx4 s[8:11], s[6:7], 0x0
	s_clause 0x6
	global_load_dwordx2 v[4:5], v97, s[12:13]
	global_load_dwordx2 v[6:7], v97, s[12:13] offset:616
	global_load_dwordx2 v[8:9], v97, s[12:13] offset:1232
	global_load_dwordx2 v[10:11], v97, s[12:13] offset:1848
	global_load_dwordx2 v[22:23], v[12:13], off offset:416
	global_load_dwordx2 v[24:25], v[12:13], off offset:1032
	;; [unrolled: 1-line block ×3, first 2 shown]
	s_waitcnt lgkmcnt(0)
	v_mad_u64_u32 v[0:1], null, s10, v88, 0
	v_mad_u64_u32 v[2:3], null, s8, v98, 0
	s_mul_i32 s6, s9, 0x268
	s_mul_hi_u32 s7, s8, 0x268
	s_add_i32 s7, s7, s6
	v_mad_u64_u32 v[14:15], null, s11, v88, v[1:2]
	v_add_co_u32 v15, s0, 0x1000, v20
	v_add_co_ci_u32_e64 v16, s0, 0, v21, s0
	v_mov_b32_e32 v1, v14
	s_clause 0x2
	global_load_dwordx2 v[26:27], v[15:16], off offset:216
	global_load_dwordx2 v[28:29], v[15:16], off offset:832
	;; [unrolled: 1-line block ×3, first 2 shown]
	v_lshlrev_b64 v[0:1], 3, v[0:1]
	s_waitcnt vmcnt(9)
	v_mad_u64_u32 v[17:18], null, s9, v98, v[3:4]
	v_add_co_u32 v18, s0, 0x1800, v20
	v_add_co_ci_u32_e64 v19, s0, 0, v21, s0
	v_add_co_u32 v20, s0, 0x2000, v20
	v_mov_b32_e32 v3, v17
	v_add_co_ci_u32_e64 v21, s0, 0, v21, s0
	v_add_co_u32 v0, s0, s2, v0
	v_lshlrev_b64 v[2:3], 3, v[2:3]
	v_add_co_ci_u32_e64 v1, s0, s3, v1, s0
	s_mul_i32 s2, s8, 0x268
	s_clause 0x4
	global_load_dwordx2 v[30:31], v[18:19], off offset:16
	global_load_dwordx2 v[32:33], v[18:19], off offset:632
	;; [unrolled: 1-line block ×5, first 2 shown]
	v_add_co_u32 v0, s0, v0, v2
	v_add_co_ci_u32_e64 v1, s0, v1, v3, s0
	v_add_co_u32 v2, s0, v0, s2
	v_add_co_ci_u32_e64 v3, s0, s7, v1, s0
	;; [unrolled: 2-line block ×5, first 2 shown]
	s_clause 0x3
	global_load_dwordx2 v[0:1], v[0:1], off
	global_load_dwordx2 v[2:3], v[2:3], off
	;; [unrolled: 1-line block ×4, first 2 shown]
	v_add_co_u32 v42, s0, v40, s2
	v_add_co_ci_u32_e64 v43, s0, s7, v41, s0
	global_load_dwordx2 v[40:41], v[40:41], off
	v_add_co_u32 v44, s0, v42, s2
	v_add_co_ci_u32_e64 v45, s0, s7, v43, s0
	global_load_dwordx2 v[42:43], v[42:43], off
	;; [unrolled: 3-line block ×12, first 2 shown]
	s_clause 0x1
	global_load_dwordx2 v[66:67], v[20:21], off offset:1048
	global_load_dwordx2 v[20:21], v[20:21], off offset:1664
	global_load_dwordx2 v[64:65], v[64:65], off
	s_waitcnt vmcnt(18)
	v_mul_f32_e32 v68, v1, v5
	v_mul_f32_e32 v69, v0, v5
	s_waitcnt vmcnt(17)
	v_mul_f32_e32 v5, v3, v7
	v_fmac_f32_e32 v68, v0, v4
	v_fma_f32 v69, v1, v4, -v69
	v_mul_f32_e32 v1, v2, v7
	s_waitcnt vmcnt(16)
	v_mul_f32_e32 v4, v16, v9
	v_fmac_f32_e32 v5, v2, v6
	v_mul_f32_e32 v0, v17, v9
	s_waitcnt vmcnt(15)
	v_mul_f32_e32 v2, v37, v11
	v_mul_f32_e32 v7, v36, v11
	v_fma_f32 v6, v3, v6, -v1
	v_fma_f32 v1, v17, v8, -v4
	v_fmac_f32_e32 v0, v16, v8
	v_fmac_f32_e32 v2, v36, v10
	v_fma_f32 v3, v37, v10, -v7
	s_waitcnt vmcnt(14)
	v_mul_f32_e32 v4, v41, v23
	v_mul_f32_e32 v7, v40, v23
	ds_write2_b64 v97, v[68:69], v[5:6] offset1:77
	s_waitcnt vmcnt(13)
	v_mul_f32_e32 v6, v43, v25
	ds_write2_b64 v97, v[0:1], v[2:3] offset0:154 offset1:231
	v_mul_f32_e32 v1, v42, v25
	s_waitcnt vmcnt(12)
	v_mul_f32_e32 v0, v45, v13
	v_mul_f32_e32 v3, v44, v13
	s_waitcnt vmcnt(11)
	v_mul_f32_e32 v2, v47, v27
	v_mul_f32_e32 v8, v46, v27
	v_fmac_f32_e32 v4, v40, v22
	v_fma_f32 v5, v41, v22, -v7
	v_fmac_f32_e32 v6, v42, v24
	v_fma_f32 v7, v43, v24, -v1
	;; [unrolled: 2-line block ×4, first 2 shown]
	ds_write2_b64 v70, v[4:5], v[6:7] offset0:52 offset1:129
	s_waitcnt vmcnt(9)
	v_mul_f32_e32 v4, v51, v15
	v_mul_f32_e32 v8, v49, v29
	v_mul_f32_e32 v9, v48, v29
	ds_write2_b64 v71, v[0:1], v[2:3] offset0:78 offset1:155
	v_mul_f32_e32 v1, v50, v15
	s_waitcnt vmcnt(8)
	v_mul_f32_e32 v3, v52, v31
	s_waitcnt vmcnt(7)
	v_mul_f32_e32 v7, v54, v33
	v_mul_f32_e32 v0, v53, v31
	;; [unrolled: 1-line block ×3, first 2 shown]
	v_fma_f32 v5, v51, v14, -v1
	v_fma_f32 v1, v53, v30, -v3
	s_waitcnt vmcnt(6)
	v_mul_f32_e32 v6, v57, v35
	v_fma_f32 v3, v55, v32, -v7
	v_mul_f32_e32 v7, v56, v35
	v_fmac_f32_e32 v4, v50, v14
	v_fmac_f32_e32 v8, v48, v28
	s_waitcnt vmcnt(5)
	v_mul_f32_e32 v10, v59, v19
	v_mul_f32_e32 v11, v58, v19
	v_fma_f32 v9, v49, v28, -v9
	v_fmac_f32_e32 v0, v52, v30
	v_fmac_f32_e32 v2, v54, v32
	s_waitcnt vmcnt(4)
	v_mul_f32_e32 v12, v61, v39
	v_mul_f32_e32 v13, v60, v39
	v_fmac_f32_e32 v6, v56, v34
	s_waitcnt vmcnt(2)
	v_mul_f32_e32 v14, v63, v67
	v_mul_f32_e32 v15, v62, v67
	s_waitcnt vmcnt(0)
	v_mul_f32_e32 v16, v65, v21
	v_mul_f32_e32 v17, v64, v21
	v_fma_f32 v7, v57, v34, -v7
	v_fmac_f32_e32 v10, v58, v18
	v_fma_f32 v11, v59, v18, -v11
	v_fmac_f32_e32 v12, v60, v38
	;; [unrolled: 2-line block ×4, first 2 shown]
	v_fma_f32 v17, v65, v20, -v17
	ds_write2_b64 v72, v[8:9], v[4:5] offset0:104 offset1:181
	ds_write2_b64 v73, v[0:1], v[2:3] offset0:2 offset1:79
	;; [unrolled: 1-line block ×4, first 2 shown]
	ds_write_b64 v97, v[16:17] offset:9856
.LBB0_3:
	s_or_b32 exec_lo, exec_lo, s1
	v_mov_b32_e32 v4, 0
	v_mov_b32_e32 v5, 0
	s_waitcnt lgkmcnt(0)
	s_barrier
	buffer_gl0_inv
                                        ; implicit-def: $vgpr16
                                        ; implicit-def: $vgpr12
                                        ; implicit-def: $vgpr8
                                        ; implicit-def: $vgpr36
                                        ; implicit-def: $vgpr26
                                        ; implicit-def: $vgpr34
                                        ; implicit-def: $vgpr30
                                        ; implicit-def: $vgpr22
	s_and_saveexec_b32 s0, vcc_lo
	s_cbranch_execz .LBB0_5
; %bb.4:
	v_add_nc_u32_e32 v0, 0x800, v97
	v_add_nc_u32_e32 v1, 0xc00, v97
	;; [unrolled: 1-line block ×4, first 2 shown]
	ds_read2_b64 v[4:7], v97 offset1:77
	ds_read2_b64 v[28:31], v0 offset0:52 offset1:129
	v_add_nc_u32_e32 v0, 0x2000, v97
	ds_read2_b64 v[20:23], v97 offset0:154 offset1:231
	ds_read2_b64 v[32:35], v1 offset0:78 offset1:155
	;; [unrolled: 1-line block ×6, first 2 shown]
	ds_read_b64 v[36:37], v97 offset:9856
.LBB0_5:
	s_or_b32 exec_lo, exec_lo, s0
	s_waitcnt lgkmcnt(0)
	v_sub_f32_e32 v49, v7, v37
	v_sub_f32_e32 v48, v6, v36
	v_add_f32_e32 v66, v36, v6
	v_sub_f32_e32 v51, v21, v11
	v_add_f32_e32 v67, v37, v7
	v_mul_f32_e32 v38, 0xbeb8f4ab, v49
	v_mul_f32_e32 v39, 0xbeb8f4ab, v48
	v_add_f32_e32 v69, v10, v20
	v_sub_f32_e32 v50, v20, v10
	v_mul_f32_e32 v54, 0xbf2c7751, v51
	v_fmamk_f32 v0, v66, 0x3f6eb680, v38
	v_sub_f32_e32 v53, v23, v9
	v_fma_f32 v1, 0x3f6eb680, v67, -v39
	v_add_f32_e32 v70, v11, v21
	v_mul_f32_e32 v55, 0xbf2c7751, v50
	v_add_f32_e32 v0, v0, v4
	v_fmamk_f32 v2, v69, 0x3f3d2fb0, v54
	v_sub_f32_e32 v52, v22, v8
	v_add_f32_e32 v72, v8, v22
	v_mul_f32_e32 v56, 0xbf65296c, v53
	v_sub_f32_e32 v112, v29, v15
	v_add_f32_e32 v1, v1, v5
	v_fma_f32 v3, 0x3f3d2fb0, v70, -v55
	v_add_f32_e32 v0, v2, v0
	v_add_f32_e32 v73, v9, v23
	v_mul_f32_e32 v57, 0xbf65296c, v52
	v_fmamk_f32 v2, v72, 0x3ee437d1, v56
	v_sub_f32_e32 v99, v28, v14
	v_add_f32_e32 v76, v14, v28
	v_mul_f32_e32 v58, 0xbf7ee86f, v112
	v_sub_f32_e32 v123, v31, v13
	v_add_f32_e32 v1, v3, v1
	v_fma_f32 v3, 0x3ee437d1, v73, -v57
	v_add_f32_e32 v77, v15, v29
	v_mul_f32_e32 v59, 0xbf7ee86f, v99
	v_add_f32_e32 v0, v2, v0
	v_fmamk_f32 v2, v76, 0x3dbcf732, v58
	v_sub_f32_e32 v122, v30, v12
	v_add_f32_e32 v95, v12, v30
	v_mul_f32_e32 v60, 0xbf763a35, v123
	v_sub_f32_e32 v126, v33, v19
	v_add_f32_e32 v1, v3, v1
	v_fma_f32 v3, 0x3dbcf732, v77, -v59
	v_add_f32_e32 v0, v2, v0
	v_add_f32_e32 v96, v13, v31
	v_mul_f32_e32 v61, 0xbf763a35, v122
	v_fmamk_f32 v2, v95, 0xbe8c1d8e, v60
	v_sub_f32_e32 v125, v32, v18
	v_add_f32_e32 v100, v18, v32
	v_mul_f32_e32 v62, 0xbf4c4adb, v126
	v_sub_f32_e32 v143, v35, v17
	v_add_f32_e32 v1, v3, v1
	v_fma_f32 v3, 0xbe8c1d8e, v96, -v61
	v_add_f32_e32 v101, v19, v33
	v_mul_f32_e32 v64, 0xbf4c4adb, v125
	v_add_f32_e32 v0, v2, v0
	v_fmamk_f32 v2, v100, 0xbf1a4643, v62
	v_add_f32_e32 v110, v16, v34
	v_mul_f32_e32 v63, 0xbf06c442, v143
	v_sub_f32_e32 v142, v34, v16
	v_add_f32_e32 v1, v3, v1
	v_fma_f32 v3, 0xbf1a4643, v101, -v64
	v_add_f32_e32 v0, v2, v0
	v_fmamk_f32 v2, v110, 0xbf59a7d5, v63
	v_add_f32_e32 v111, v17, v35
	v_mul_f32_e32 v65, 0xbf06c442, v142
	v_sub_f32_e32 v145, v25, v27
	v_mul_f32_e32 v80, 0xbf2c7751, v49
	v_add_f32_e32 v1, v3, v1
	v_add_f32_e32 v0, v2, v0
	v_fma_f32 v2, 0xbf59a7d5, v111, -v65
	v_add_f32_e32 v117, v26, v24
	v_mul_f32_e32 v68, 0xbe3c28d5, v145
	v_fmamk_f32 v3, v66, 0x3f3d2fb0, v80
	v_mul_f32_e32 v81, 0xbf7ee86f, v51
	v_mul_f32_e32 v91, 0xbf2c7751, v48
	v_add_f32_e32 v1, v2, v1
	v_fmamk_f32 v2, v117, 0xbf7ba420, v68
	v_add_f32_e32 v3, v3, v4
	v_fmamk_f32 v40, v69, 0x3dbcf732, v81
	v_fma_f32 v41, 0x3f3d2fb0, v67, -v91
	v_mul_f32_e32 v93, 0xbf7ee86f, v50
	v_mul_f32_e32 v82, 0xbf4c4adb, v53
	v_add_f32_e32 v89, v2, v0
	v_add_f32_e32 v0, v40, v3
	;; [unrolled: 1-line block ×3, first 2 shown]
	v_fma_f32 v3, 0x3dbcf732, v70, -v93
	v_fmamk_f32 v40, v72, 0xbf1a4643, v82
	v_mul_f32_e32 v86, 0xbf4c4adb, v52
	v_mul_f32_e32 v84, 0xbe3c28d5, v112
	;; [unrolled: 1-line block ×3, first 2 shown]
	v_add_f32_e32 v2, v3, v2
	v_add_f32_e32 v0, v40, v0
	v_fma_f32 v3, 0xbf1a4643, v73, -v86
	v_fmamk_f32 v40, v76, 0xbf7ba420, v84
	v_mul_f32_e32 v85, 0x3f06c442, v123
	v_mul_f32_e32 v92, 0x3f06c442, v122
	;; [unrolled: 1-line block ×3, first 2 shown]
	v_add_f32_e32 v2, v3, v2
	v_add_f32_e32 v0, v40, v0
	v_fma_f32 v3, 0xbf7ba420, v77, -v87
	v_fmamk_f32 v40, v95, 0xbf59a7d5, v85
	v_sub_f32_e32 v149, v24, v26
	v_mul_f32_e32 v94, 0x3f763a35, v125
	v_mul_f32_e32 v106, 0xbf65296c, v49
	v_add_f32_e32 v2, v3, v2
	v_fma_f32 v3, 0xbf59a7d5, v96, -v92
	v_add_f32_e32 v0, v40, v0
	v_fmamk_f32 v40, v100, 0xbe8c1d8e, v74
	v_add_f32_e32 v124, v27, v25
	v_mul_f32_e32 v71, 0xbe3c28d5, v149
	v_add_f32_e32 v2, v3, v2
	v_fma_f32 v3, 0xbe8c1d8e, v101, -v94
	v_add_f32_e32 v0, v40, v0
	v_mul_f32_e32 v75, 0x3f65296c, v143
	v_mul_f32_e32 v79, 0x3f65296c, v142
	v_fmamk_f32 v40, v66, 0x3ee437d1, v106
	v_mul_f32_e32 v107, 0xbf4c4adb, v51
	v_fma_f32 v41, 0xbf7ba420, v124, -v71
	v_add_f32_e32 v2, v3, v2
	v_fmamk_f32 v3, v110, 0x3ee437d1, v75
	v_fma_f32 v42, 0x3ee437d1, v111, -v79
	v_add_f32_e32 v40, v40, v4
	v_fmamk_f32 v43, v69, 0xbf1a4643, v107
	v_mul_f32_e32 v108, 0x3e3c28d5, v53
	v_mul_f32_e32 v114, 0xbf65296c, v48
	v_add_f32_e32 v90, v41, v1
	v_add_f32_e32 v0, v3, v0
	;; [unrolled: 1-line block ×4, first 2 shown]
	v_fmamk_f32 v3, v72, 0xbf7ba420, v108
	v_mul_f32_e32 v102, 0x3f763a35, v112
	v_fma_f32 v41, 0x3ee437d1, v67, -v114
	v_mul_f32_e32 v115, 0xbf4c4adb, v50
	v_mul_f32_e32 v103, 0x3f2c7751, v123
	v_add_f32_e32 v2, v3, v2
	v_fmamk_f32 v3, v76, 0xbe8c1d8e, v102
	v_add_f32_e32 v41, v41, v5
	v_fma_f32 v42, 0xbf1a4643, v70, -v115
	v_mul_f32_e32 v116, 0x3e3c28d5, v52
	v_mul_f32_e32 v78, 0x3eb8f4ab, v145
	v_add_f32_e32 v2, v3, v2
	v_fmamk_f32 v3, v95, 0x3f3d2fb0, v103
	v_mul_f32_e32 v104, 0xbeb8f4ab, v126
	v_add_f32_e32 v41, v42, v41
	v_fma_f32 v42, 0xbf7ba420, v73, -v116
	v_mul_f32_e32 v118, 0x3f763a35, v99
	v_mul_f32_e32 v83, 0x3eb8f4ab, v149
	v_fmamk_f32 v40, v117, 0x3f6eb680, v78
	v_add_f32_e32 v2, v3, v2
	v_fmamk_f32 v3, v100, 0x3f6eb680, v104
	v_mul_f32_e32 v105, 0xbf7ee86f, v143
	v_add_f32_e32 v41, v42, v41
	v_fma_f32 v42, 0xbe8c1d8e, v77, -v118
	v_mul_f32_e32 v119, 0x3f2c7751, v122
	v_fma_f32 v43, 0x3f6eb680, v124, -v83
	v_add_f32_e32 v3, v3, v2
	v_fmamk_f32 v44, v110, 0x3dbcf732, v105
	v_add_f32_e32 v2, v40, v0
	v_mul_f32_e32 v109, 0xbf06c442, v145
	v_add_f32_e32 v40, v42, v41
	v_fma_f32 v41, 0x3f3d2fb0, v96, -v119
	v_mul_f32_e32 v113, 0xbeb8f4ab, v125
	v_mul_f32_e32 v129, 0xbf7ee86f, v49
	v_add_f32_e32 v0, v44, v3
	v_fmamk_f32 v42, v117, 0xbf59a7d5, v109
	v_add_f32_e32 v3, v43, v1
	v_add_f32_e32 v1, v41, v40
	v_fma_f32 v40, 0x3f6eb680, v101, -v113
	v_fmamk_f32 v41, v66, 0x3dbcf732, v129
	v_mul_f32_e32 v130, 0xbe3c28d5, v51
	v_mul_f32_e32 v138, 0xbf7ee86f, v48
	v_add_f32_e32 v0, v42, v0
	v_add_f32_e32 v1, v40, v1
	v_mul_f32_e32 v120, 0xbf7ee86f, v142
	v_add_f32_e32 v40, v41, v4
	v_fmamk_f32 v41, v69, 0xbf7ba420, v130
	v_fma_f32 v42, 0x3dbcf732, v67, -v138
	v_mul_f32_e32 v139, 0xbe3c28d5, v50
	v_mul_f32_e32 v127, 0x3f763a35, v53
	v_fma_f32 v43, 0x3dbcf732, v111, -v120
	v_add_f32_e32 v40, v41, v40
	v_add_f32_e32 v41, v42, v5
	v_fma_f32 v42, 0xbf7ba420, v70, -v139
	v_fmamk_f32 v44, v72, 0xbe8c1d8e, v127
	v_mul_f32_e32 v141, 0x3f763a35, v52
	v_mul_f32_e32 v128, 0x3eb8f4ab, v112
	v_add_f32_e32 v1, v43, v1
	v_add_f32_e32 v41, v42, v41
	;; [unrolled: 1-line block ×3, first 2 shown]
	v_fma_f32 v42, 0xbe8c1d8e, v73, -v141
	v_fmamk_f32 v43, v76, 0x3f6eb680, v128
	v_mul_f32_e32 v136, 0x3eb8f4ab, v99
	v_mul_f32_e32 v131, 0xbf65296c, v123
	;; [unrolled: 1-line block ×3, first 2 shown]
	v_add_f32_e32 v41, v42, v41
	v_add_f32_e32 v40, v43, v40
	v_fma_f32 v42, 0x3f6eb680, v77, -v136
	v_fmamk_f32 v43, v95, 0x3ee437d1, v131
	v_mul_f32_e32 v133, 0xbf06c442, v126
	v_mul_f32_e32 v121, 0xbf06c442, v149
	;; [unrolled: 1-line block ×3, first 2 shown]
	v_add_f32_e32 v41, v42, v41
	v_add_f32_e32 v40, v43, v40
	v_fma_f32 v42, 0x3ee437d1, v96, -v134
	v_fmamk_f32 v43, v100, 0xbf59a7d5, v133
	v_mul_f32_e32 v132, 0x3f4c4adb, v143
	v_fma_f32 v44, 0xbf59a7d5, v124, -v121
	v_mul_f32_e32 v137, 0x3f4c4adb, v142
	v_add_f32_e32 v41, v42, v41
	v_fma_f32 v42, 0xbf59a7d5, v101, -v135
	v_add_f32_e32 v40, v43, v40
	v_fmamk_f32 v43, v110, 0xbf1a4643, v132
	v_mul_f32_e32 v146, 0xbf763a35, v49
	v_mul_f32_e32 v156, 0xbf763a35, v48
	v_add_f32_e32 v1, v44, v1
	v_add_f32_e32 v41, v42, v41
	;; [unrolled: 1-line block ×3, first 2 shown]
	v_fma_f32 v42, 0xbf1a4643, v111, -v137
	v_fmamk_f32 v43, v66, 0xbe8c1d8e, v146
	v_mul_f32_e32 v147, 0x3f06c442, v51
	v_fma_f32 v44, 0xbe8c1d8e, v67, -v156
	v_mul_f32_e32 v159, 0x3f06c442, v50
	v_add_f32_e32 v41, v42, v41
	v_add_f32_e32 v42, v43, v4
	v_fmamk_f32 v43, v69, 0xbf59a7d5, v147
	v_add_f32_e32 v44, v44, v5
	v_fma_f32 v45, 0xbf59a7d5, v70, -v159
	v_mul_f32_e32 v148, 0x3f2c7751, v53
	v_mul_f32_e32 v154, 0x3f2c7751, v52
	v_add_f32_e32 v42, v43, v42
	v_mul_f32_e32 v150, 0xbf65296c, v112
	v_add_f32_e32 v43, v45, v44
	v_fmamk_f32 v44, v72, 0x3f3d2fb0, v148
	v_fma_f32 v45, 0x3f3d2fb0, v73, -v154
	v_mul_f32_e32 v155, 0xbf65296c, v99
	v_mul_f32_e32 v152, 0xbe3c28d5, v123
	v_mul_f32_e32 v157, 0xbe3c28d5, v122
	v_add_f32_e32 v42, v44, v42
	v_fmamk_f32 v44, v76, 0x3ee437d1, v150
	v_add_f32_e32 v43, v45, v43
	v_fma_f32 v45, 0x3ee437d1, v77, -v155
	v_mul_f32_e32 v151, 0x3f7ee86f, v126
	v_mul_f32_e32 v140, 0x3f2c7751, v145
	v_add_f32_e32 v42, v44, v42
	v_fmamk_f32 v44, v95, 0xbf7ba420, v152
	v_add_f32_e32 v43, v45, v43
	v_fma_f32 v45, 0xbf7ba420, v96, -v157
	v_mul_f32_e32 v161, 0x3f7ee86f, v125
	v_mul_f32_e32 v153, 0xbeb8f4ab, v143
	v_add_f32_e32 v42, v44, v42
	v_fmamk_f32 v44, v100, 0x3dbcf732, v151
	v_fmamk_f32 v46, v117, 0x3f3d2fb0, v140
	v_mul_f32_e32 v144, 0x3f2c7751, v149
	v_add_f32_e32 v43, v45, v43
	v_fma_f32 v45, 0x3dbcf732, v101, -v161
	v_mul_f32_e32 v160, 0xbeb8f4ab, v142
	v_add_f32_e32 v42, v44, v42
	v_fmamk_f32 v44, v110, 0x3f6eb680, v153
	v_mul_f32_e32 v168, 0xbf4c4adb, v49
	v_add_f32_e32 v40, v46, v40
	v_fma_f32 v46, 0x3f3d2fb0, v124, -v144
	v_add_f32_e32 v43, v45, v43
	v_fma_f32 v45, 0x3f6eb680, v111, -v160
	v_mul_f32_e32 v171, 0xbf4c4adb, v48
	v_add_f32_e32 v42, v44, v42
	v_fmamk_f32 v44, v66, 0xbf1a4643, v168
	v_mul_f32_e32 v169, 0x3f763a35, v51
	v_add_f32_e32 v41, v46, v41
	v_add_f32_e32 v43, v45, v43
	v_fma_f32 v45, 0xbf1a4643, v67, -v171
	v_mul_f32_e32 v172, 0x3f763a35, v50
	v_add_f32_e32 v44, v44, v4
	v_fmamk_f32 v46, v69, 0xbe8c1d8e, v169
	v_mul_f32_e32 v166, 0xbeb8f4ab, v53
	v_add_f32_e32 v45, v45, v5
	v_fma_f32 v47, 0xbe8c1d8e, v70, -v172
	v_mul_f32_e32 v173, 0xbeb8f4ab, v52
	v_add_f32_e32 v44, v46, v44
	v_fmamk_f32 v46, v72, 0x3f6eb680, v166
	v_mul_f32_e32 v163, 0xbf06c442, v112
	;; [unrolled: 6-line block ×4, first 2 shown]
	v_mul_f32_e32 v158, 0xbf4c4adb, v145
	v_add_f32_e32 v45, v47, v45
	v_fma_f32 v47, 0x3dbcf732, v96, -v175
	v_mul_f32_e32 v177, 0xbf2c7751, v125
	v_add_f32_e32 v44, v46, v44
	v_fmamk_f32 v46, v100, 0x3f3d2fb0, v165
	v_mul_f32_e32 v167, 0xbe3c28d5, v143
	v_mul_f32_e32 v179, 0xbf06c442, v49
	;; [unrolled: 1-line block ×3, first 2 shown]
	v_fmamk_f32 v162, v117, 0xbf1a4643, v158
	v_add_f32_e32 v45, v47, v45
	v_fma_f32 v47, 0x3f3d2fb0, v101, -v177
	v_mul_f32_e32 v176, 0xbe3c28d5, v142
	v_add_f32_e32 v44, v46, v44
	v_fmamk_f32 v46, v110, 0xbf7ba420, v167
	v_fma_f32 v181, 0xbf59a7d5, v66, -v179
	v_mul_f32_e32 v182, 0x3f65296c, v51
	v_fmamk_f32 v183, v67, 0xbf59a7d5, v180
	v_mul_f32_e32 v184, 0x3f65296c, v50
	v_add_f32_e32 v42, v162, v42
	v_mul_f32_e32 v162, 0xbf4c4adb, v149
	v_add_f32_e32 v45, v47, v45
	v_fma_f32 v47, 0xbf7ba420, v111, -v176
	v_add_f32_e32 v44, v46, v44
	v_add_f32_e32 v46, v181, v4
	v_fma_f32 v181, 0x3ee437d1, v69, -v182
	v_add_f32_e32 v183, v183, v5
	v_fmamk_f32 v185, v70, 0x3ee437d1, v184
	v_mul_f32_e32 v186, 0xbf7ee86f, v53
	v_fma_f32 v170, 0xbf1a4643, v124, -v162
	v_mul_f32_e32 v187, 0xbf7ee86f, v52
	v_add_f32_e32 v45, v47, v45
	v_add_f32_e32 v46, v181, v46
	;; [unrolled: 1-line block ×3, first 2 shown]
	v_fma_f32 v181, 0x3dbcf732, v72, -v186
	v_mul_f32_e32 v185, 0x3f4c4adb, v112
	v_add_f32_e32 v43, v170, v43
	v_mul_f32_e32 v170, 0x3f65296c, v145
	v_mul_f32_e32 v178, 0x3f65296c, v149
	v_fmamk_f32 v183, v73, 0x3dbcf732, v187
	v_mul_f32_e32 v188, 0x3f4c4adb, v99
	v_add_f32_e32 v46, v181, v46
	v_fma_f32 v181, 0xbf1a4643, v76, -v185
	v_mul_f32_e32 v190, 0xbeb8f4ab, v123
	v_fmamk_f32 v189, v117, 0x3ee437d1, v170
	v_add_f32_e32 v47, v183, v47
	v_fmamk_f32 v183, v77, 0xbf1a4643, v188
	v_fma_f32 v191, 0x3ee437d1, v124, -v178
	v_mul_f32_e32 v192, 0xbeb8f4ab, v122
	v_add_f32_e32 v181, v181, v46
	v_fma_f32 v193, 0x3f6eb680, v95, -v190
	v_mul_f32_e32 v194, 0xbe3c28d5, v126
	v_add_f32_e32 v183, v183, v47
	v_fmamk_f32 v195, v96, 0x3f6eb680, v192
	v_add_f32_e32 v46, v189, v44
	v_add_f32_e32 v47, v191, v45
	v_add_f32_e32 v44, v193, v181
	v_fma_f32 v45, 0xbf7ba420, v100, -v194
	v_add_f32_e32 v181, v195, v183
	v_mul_f32_e32 v183, 0xbe3c28d5, v125
	v_fmac_f32_e32 v179, 0xbf59a7d5, v66
	v_mul_f32_e32 v189, 0x3f2c7751, v143
	v_add_f32_e32 v44, v45, v44
	v_fma_f32 v45, 0xbf59a7d5, v67, -v180
	v_fmamk_f32 v180, v101, 0xbf7ba420, v183
	v_add_f32_e32 v179, v179, v4
	v_fmac_f32_e32 v182, 0x3ee437d1, v69
	v_fma_f32 v184, 0x3ee437d1, v70, -v184
	v_add_f32_e32 v45, v45, v5
	v_fma_f32 v191, 0x3f3d2fb0, v110, -v189
	v_add_f32_e32 v180, v180, v181
	v_mul_f32_e32 v181, 0x3f2c7751, v142
	v_add_f32_e32 v179, v182, v179
	v_add_f32_e32 v45, v184, v45
	v_fmac_f32_e32 v186, 0x3dbcf732, v72
	v_fma_f32 v182, 0x3dbcf732, v73, -v187
	v_add_f32_e32 v44, v191, v44
	v_fmamk_f32 v184, v111, 0x3f3d2fb0, v181
	v_mul_f32_e32 v191, 0xbf763a35, v149
	v_add_f32_e32 v179, v186, v179
	v_add_f32_e32 v45, v182, v45
	v_fmac_f32_e32 v185, 0xbf1a4643, v76
	v_fma_f32 v182, 0xbf1a4643, v77, -v188
	v_mul_f32_e32 v187, 0xbf763a35, v145
	v_add_f32_e32 v180, v184, v180
	v_fmamk_f32 v186, v124, 0xbe8c1d8e, v191
	v_add_f32_e32 v179, v185, v179
	v_add_f32_e32 v182, v182, v45
	v_fma_f32 v185, 0x3f6eb680, v96, -v192
	v_mul_f32_e32 v49, 0xbe3c28d5, v49
	v_fma_f32 v184, 0xbe8c1d8e, v117, -v187
	v_add_f32_e32 v45, v186, v180
	v_mul_f32_e32 v51, 0x3eb8f4ab, v51
	v_add_f32_e32 v180, v185, v182
	v_fma_f32 v182, 0xbf7ba420, v101, -v183
	v_fma_f32 v183, 0xbf7ba420, v66, -v49
	v_mul_f32_e32 v48, 0xbe3c28d5, v48
	v_add_f32_e32 v44, v184, v44
	v_mul_f32_e32 v50, 0x3eb8f4ab, v50
	v_add_f32_e32 v180, v182, v180
	v_add_f32_e32 v182, v183, v4
	v_fma_f32 v183, 0x3f6eb680, v69, -v51
	v_fmamk_f32 v184, v67, 0xbf7ba420, v48
	v_fmac_f32_e32 v49, 0xbf7ba420, v66
	v_fma_f32 v48, 0xbf7ba420, v67, -v48
	v_mul_f32_e32 v53, 0xbf06c442, v53
	v_add_f32_e32 v182, v183, v182
	v_add_f32_e32 v183, v184, v5
	v_fmamk_f32 v184, v70, 0x3f6eb680, v50
	v_mul_f32_e32 v52, 0xbf06c442, v52
	v_add_f32_e32 v49, v49, v4
	v_fmac_f32_e32 v51, 0x3f6eb680, v69
	v_add_f32_e32 v48, v48, v5
	v_fma_f32 v50, 0x3f6eb680, v70, -v50
	v_fmac_f32_e32 v190, 0x3f6eb680, v95
	v_fma_f32 v185, 0xbf59a7d5, v72, -v53
	v_fma_f32 v181, 0x3f3d2fb0, v111, -v181
	v_mul_f32_e32 v112, 0x3f2c7751, v112
	v_add_f32_e32 v183, v184, v183
	v_fmamk_f32 v184, v73, 0xbf59a7d5, v52
	v_mul_f32_e32 v99, 0x3f2c7751, v99
	v_add_f32_e32 v49, v51, v49
	v_add_f32_e32 v50, v50, v48
	v_fmac_f32_e32 v53, 0xbf59a7d5, v72
	v_fma_f32 v52, 0xbf59a7d5, v73, -v52
	v_add_f32_e32 v179, v190, v179
	v_fmac_f32_e32 v194, 0xbf7ba420, v100
	v_add_f32_e32 v182, v185, v182
	v_fma_f32 v185, 0x3f3d2fb0, v76, -v112
	v_add_f32_e32 v180, v181, v180
	v_add_f32_e32 v181, v184, v183
	v_fmamk_f32 v183, v77, 0x3f3d2fb0, v99
	v_mul_f32_e32 v123, 0xbf4c4adb, v123
	v_mul_f32_e32 v122, 0xbf4c4adb, v122
	v_add_f32_e32 v49, v53, v49
	v_add_f32_e32 v50, v52, v50
	v_fmac_f32_e32 v112, 0x3f3d2fb0, v76
	v_fma_f32 v52, 0x3f3d2fb0, v77, -v99
	v_add_f32_e32 v179, v194, v179
	v_fmac_f32_e32 v189, 0x3f3d2fb0, v110
	v_add_f32_e32 v182, v185, v182
	v_add_f32_e32 v181, v183, v181
	v_fma_f32 v183, 0xbf1a4643, v95, -v123
	v_fmamk_f32 v184, v96, 0xbf1a4643, v122
	v_mul_f32_e32 v51, 0x3f65296c, v126
	v_mul_f32_e32 v125, 0x3f65296c, v125
	v_add_f32_e32 v49, v112, v49
	v_add_f32_e32 v50, v52, v50
	v_fmac_f32_e32 v123, 0xbf1a4643, v95
	v_fma_f32 v52, 0xbf1a4643, v96, -v122
	v_add_f32_e32 v179, v189, v179
	v_add_f32_e32 v182, v183, v182
	;; [unrolled: 1-line block ×3, first 2 shown]
	v_fmac_f32_e32 v187, 0xbe8c1d8e, v117
	v_fma_f32 v53, 0x3ee437d1, v100, -v51
	v_mul_f32_e32 v143, 0xbf763a35, v143
	v_fmamk_f32 v99, v101, 0x3ee437d1, v125
	v_mul_f32_e32 v112, 0xbf763a35, v142
	v_add_f32_e32 v49, v123, v49
	v_add_f32_e32 v50, v52, v50
	v_fmac_f32_e32 v51, 0x3ee437d1, v100
	v_fma_f32 v52, 0x3ee437d1, v101, -v125
	s_clause 0x1
	s_load_dwordx2 s[6:7], s[4:5], 0x20
	s_load_dwordx2 s[2:3], s[4:5], 0x8
	v_add_f32_e32 v48, v187, v179
	v_add_f32_e32 v53, v53, v182
	v_fma_f32 v179, 0xbe8c1d8e, v110, -v143
	v_add_f32_e32 v99, v99, v181
	v_fmamk_f32 v122, v111, 0xbe8c1d8e, v112
	v_mul_f32_e32 v123, 0x3f7ee86f, v145
	v_mul_f32_e32 v125, 0x3f7ee86f, v149
	v_add_f32_e32 v49, v51, v49
	v_add_f32_e32 v50, v52, v50
	v_fmac_f32_e32 v143, 0xbe8c1d8e, v110
	v_fma_f32 v51, 0xbe8c1d8e, v111, -v112
	v_fma_f32 v126, 0xbe8c1d8e, v124, -v191
	v_add_f32_e32 v53, v179, v53
	v_add_f32_e32 v99, v122, v99
	v_fma_f32 v52, 0x3dbcf732, v117, -v123
	v_fmamk_f32 v112, v124, 0x3dbcf732, v125
	v_add_f32_e32 v122, v143, v49
	v_add_f32_e32 v51, v51, v50
	v_fmac_f32_e32 v123, 0x3dbcf732, v117
	v_fma_f32 v125, 0x3dbcf732, v124, -v125
	v_add_f32_e32 v49, v126, v180
	v_add_f32_e32 v52, v52, v53
	;; [unrolled: 1-line block ×5, first 2 shown]
	v_mul_lo_u16 v99, v98, 17
	s_waitcnt lgkmcnt(0)
	s_barrier
	buffer_gl0_inv
	s_and_saveexec_b32 s0, vcc_lo
	s_cbranch_execz .LBB0_7
; %bb.6:
	v_mul_f32_e32 v122, 0x3f6eb680, v67
	v_mul_f32_e32 v125, 0x3f3d2fb0, v67
	v_mul_f32_e32 v142, 0x3ee437d1, v67
	v_mul_f32_e32 v145, 0x3dbcf732, v67
	v_mul_f32_e32 v179, 0xbe8c1d8e, v67
	v_mul_f32_e32 v67, 0xbf1a4643, v67
	v_mul_f32_e32 v181, 0x3f3d2fb0, v70
	v_mul_f32_e32 v183, 0x3dbcf732, v70
	v_mul_f32_e32 v185, 0xbf1a4643, v70
	v_mul_f32_e32 v187, 0xbf7ba420, v70
	v_mul_f32_e32 v189, 0xbf59a7d5, v70
	v_mul_f32_e32 v70, 0xbe8c1d8e, v70
	v_add_f32_e32 v67, v171, v67
	v_mul_f32_e32 v191, 0x3ee437d1, v73
	v_mul_f32_e32 v193, 0xbf1a4643, v73
	v_mul_f32_e32 v195, 0xbf7ba420, v73
	v_mul_f32_e32 v197, 0xbe8c1d8e, v73
	v_mul_f32_e32 v199, 0x3f3d2fb0, v73
	v_mul_f32_e32 v73, 0x3f6eb680, v73
	v_add_f32_e32 v67, v67, v5
	v_add_f32_e32 v70, v172, v70
	v_mul_f32_e32 v201, 0x3dbcf732, v77
	v_mul_f32_e32 v203, 0xbf7ba420, v77
	v_mul_f32_e32 v205, 0xbe8c1d8e, v77
	v_mul_f32_e32 v207, 0x3f6eb680, v77
	v_mul_f32_e32 v209, 0x3ee437d1, v77
	v_mul_f32_e32 v77, 0xbf59a7d5, v77
	v_add_f32_e32 v67, v70, v67
	;; [unrolled: 8-line block ×3, first 2 shown]
	v_add_f32_e32 v70, v174, v77
	v_mul_f32_e32 v112, 0x3f6eb680, v66
	v_mul_f32_e32 v123, 0x3f3d2fb0, v66
	;; [unrolled: 1-line block ×12, first 2 shown]
	v_add_f32_e32 v67, v70, v67
	v_add_f32_e32 v70, v175, v96
	v_mul_f32_e32 v180, 0x3f3d2fb0, v69
	v_mul_f32_e32 v182, 0x3dbcf732, v69
	;; [unrolled: 1-line block ×12, first 2 shown]
	v_add_f32_e32 v67, v70, v67
	v_add_f32_e32 v70, v177, v101
	v_sub_f32_e32 v66, v66, v168
	v_mul_f32_e32 v190, 0x3ee437d1, v72
	v_mul_f32_e32 v192, 0xbf1a4643, v72
	;; [unrolled: 1-line block ×12, first 2 shown]
	v_add_f32_e32 v67, v70, v67
	v_add_f32_e32 v70, v176, v111
	;; [unrolled: 1-line block ×3, first 2 shown]
	v_sub_f32_e32 v69, v69, v169
	v_mul_f32_e32 v200, 0x3dbcf732, v76
	v_mul_f32_e32 v202, 0xbf7ba420, v76
	;; [unrolled: 1-line block ×12, first 2 shown]
	v_add_f32_e32 v117, v156, v179
	v_add_f32_e32 v67, v70, v67
	;; [unrolled: 1-line block ×4, first 2 shown]
	v_sub_f32_e32 v72, v72, v166
	v_mul_f32_e32 v210, 0xbe8c1d8e, v95
	v_mul_f32_e32 v212, 0xbf59a7d5, v95
	v_mul_f32_e32 v214, 0x3f3d2fb0, v95
	v_mul_f32_e32 v216, 0x3ee437d1, v95
	v_mul_f32_e32 v218, 0xbf7ba420, v95
	v_mul_f32_e32 v95, 0x3dbcf732, v95
	v_add_f32_e32 v117, v117, v5
	v_add_f32_e32 v124, v159, v189
	v_add_f32_e32 v66, v70, v67
	v_sub_f32_e32 v67, v149, v146
	v_add_f32_e32 v69, v72, v69
	v_sub_f32_e32 v70, v76, v163
	v_mul_f32_e32 v220, 0xbf1a4643, v100
	v_mul_f32_e32 v222, 0xbe8c1d8e, v100
	v_mul_f32_e32 v224, 0x3f6eb680, v100
	v_mul_f32_e32 v226, 0xbf59a7d5, v100
	v_mul_f32_e32 v228, 0x3dbcf732, v100
	v_mul_f32_e32 v100, 0x3f3d2fb0, v100
	v_add_f32_e32 v72, v124, v117
	v_add_f32_e32 v76, v154, v199
	v_add_f32_e32 v67, v67, v4
	v_sub_f32_e32 v117, v188, v147
	v_add_f32_e32 v69, v70, v69
	;; [unrolled: 12-line block ×3, first 2 shown]
	v_sub_f32_e32 v70, v100, v165
	v_add_f32_e32 v72, v76, v72
	v_add_f32_e32 v76, v157, v219
	;; [unrolled: 1-line block ×3, first 2 shown]
	v_sub_f32_e32 v95, v208, v150
	v_add_f32_e32 v69, v70, v69
	v_sub_f32_e32 v70, v110, v167
	v_add_f32_e32 v72, v76, v72
	v_add_f32_e32 v76, v161, v229
	v_add_f32_e32 v67, v95, v67
	v_sub_f32_e32 v95, v218, v152
	v_add_f32_e32 v100, v70, v69
	v_add_f32_e32 v69, v138, v145
	v_add_f32_e32 v70, v76, v72
	v_add_f32_e32 v72, v160, v173
	v_add_f32_e32 v67, v95, v67
	v_sub_f32_e32 v76, v228, v151
	v_add_f32_e32 v69, v69, v5
	v_add_f32_e32 v95, v139, v187
	;; [unrolled: 6-line block ×3, first 2 shown]
	v_sub_f32_e32 v110, v143, v129
	v_add_f32_e32 v70, v72, v70
	v_add_f32_e32 v67, v73, v67
	;; [unrolled: 1-line block ×5, first 2 shown]
	v_sub_f32_e32 v76, v186, v130
	v_add_f32_e32 v110, v114, v142
	v_sub_f32_e32 v95, v111, v170
	v_add_f32_e32 v69, v72, v69
	v_add_f32_e32 v72, v134, v217
	;; [unrolled: 1-line block ×3, first 2 shown]
	v_sub_f32_e32 v76, v196, v127
	v_add_f32_e32 v110, v110, v5
	v_add_f32_e32 v111, v115, v185
	;; [unrolled: 1-line block ×5, first 2 shown]
	v_sub_f32_e32 v76, v206, v128
	v_add_f32_e32 v110, v111, v110
	v_add_f32_e32 v111, v116, v195
	v_sub_f32_e32 v101, v101, v158
	v_add_f32_e32 v72, v72, v69
	v_add_f32_e32 v114, v137, v235
	;; [unrolled: 1-line block ×3, first 2 shown]
	v_sub_f32_e32 v76, v216, v131
	v_add_f32_e32 v110, v111, v110
	v_add_f32_e32 v111, v118, v205
	;; [unrolled: 1-line block ×5, first 2 shown]
	v_sub_f32_e32 v73, v226, v133
	v_add_f32_e32 v76, v111, v110
	v_add_f32_e32 v101, v119, v215
	;; [unrolled: 1-line block ×3, first 2 shown]
	v_sub_f32_e32 v111, v234, v132
	v_add_f32_e32 v73, v73, v72
	v_add_f32_e32 v91, v91, v125
	;; [unrolled: 1-line block ×11, first 2 shown]
	v_sub_f32_e32 v81, v182, v81
	v_add_f32_e32 v91, v93, v91
	v_add_f32_e32 v87, v87, v203
	;; [unrolled: 1-line block ×9, first 2 shown]
	v_sub_f32_e32 v73, v123, v80
	v_add_f32_e32 v86, v87, v86
	v_add_f32_e32 v87, v92, v213
	;; [unrolled: 1-line block ×5, first 2 shown]
	v_sub_f32_e32 v20, v222, v74
	v_add_f32_e32 v74, v83, v237
	v_add_f32_e32 v7, v23, v7
	;; [unrolled: 1-line block ×4, first 2 shown]
	v_sub_f32_e32 v81, v192, v82
	v_sub_f32_e32 v22, v231, v75
	v_add_f32_e32 v7, v29, v7
	v_add_f32_e32 v23, v28, v6
	v_sub_f32_e32 v106, v126, v106
	v_add_f32_e32 v73, v81, v73
	v_sub_f32_e32 v81, v202, v84
	v_add_f32_e32 v84, v87, v86
	v_add_f32_e32 v86, v94, v223
	v_add_f32_e32 v7, v31, v7
	v_sub_f32_e32 v28, v112, v38
	v_add_f32_e32 v73, v81, v73
	v_sub_f32_e32 v81, v212, v85
	v_add_f32_e32 v84, v86, v84
	v_add_f32_e32 v7, v33, v7
	;; [unrolled: 1-line block ×7, first 2 shown]
	v_sub_f32_e32 v28, v180, v54
	v_sub_f32_e32 v107, v184, v107
	v_add_f32_e32 v20, v20, v73
	v_add_f32_e32 v6, v74, v21
	;; [unrolled: 1-line block ×10, first 2 shown]
	v_sub_f32_e32 v106, v194, v108
	v_add_f32_e32 v21, v32, v22
	v_add_f32_e32 v22, v55, v181
	;; [unrolled: 1-line block ×3, first 2 shown]
	v_sub_f32_e32 v102, v204, v102
	v_add_f32_e32 v101, v106, v101
	v_add_f32_e32 v21, v34, v21
	;; [unrolled: 1-line block ×7, first 2 shown]
	v_sub_f32_e32 v24, v190, v56
	v_add_f32_e32 v5, v22, v5
	v_add_f32_e32 v22, v59, v201
	;; [unrolled: 1-line block ×5, first 2 shown]
	v_sub_f32_e32 v24, v200, v58
	v_add_f32_e32 v5, v22, v5
	v_add_f32_e32 v80, v102, v101
	;; [unrolled: 1-line block ×3, first 2 shown]
	v_sub_f32_e32 v21, v210, v60
	v_add_f32_e32 v4, v24, v4
	v_sub_f32_e32 v101, v214, v103
	v_add_f32_e32 v5, v17, v5
	v_add_f32_e32 v16, v18, v16
	;; [unrolled: 1-line block ×4, first 2 shown]
	v_sub_f32_e32 v13, v220, v62
	v_add_f32_e32 v7, v15, v7
	v_add_f32_e32 v12, v12, v16
	;; [unrolled: 1-line block ×3, first 2 shown]
	v_sub_f32_e32 v93, v224, v104
	v_add_f32_e32 v5, v17, v5
	v_add_f32_e32 v16, v65, v230
	;; [unrolled: 1-line block ×4, first 2 shown]
	v_sub_f32_e32 v13, v171, v63
	v_add_f32_e32 v7, v9, v7
	v_add_f32_e32 v80, v93, v80
	;; [unrolled: 1-line block ×3, first 2 shown]
	v_sub_f32_e32 v82, v172, v105
	v_add_f32_e32 v5, v16, v5
	v_add_f32_e32 v9, v71, v174
	;; [unrolled: 1-line block ×3, first 2 shown]
	v_sub_f32_e32 v12, v77, v68
	v_add_f32_e32 v11, v11, v7
	v_add_f32_e32 v13, v10, v8
	v_mov_b32_e32 v14, 3
	v_add_f32_e32 v80, v82, v80
	v_sub_f32_e32 v82, v96, v109
	v_sub_f32_e32 v23, v236, v78
	;; [unrolled: 1-line block ×3, first 2 shown]
	v_add_f32_e32 v8, v9, v5
	v_add_f32_e32 v7, v12, v4
	;; [unrolled: 1-line block ×4, first 2 shown]
	v_lshlrev_b32_sdwa v4, v14, v99 dst_sel:DWORD dst_unused:UNUSED_PAD src0_sel:DWORD src1_sel:WORD_0
	v_add_f32_e32 v75, v82, v80
	v_add_f32_e32 v5, v23, v20
	;; [unrolled: 1-line block ×4, first 2 shown]
	ds_write2_b64 v4, v[9:10], v[7:8] offset1:1
	ds_write2_b64 v4, v[5:6], v[75:76] offset0:2 offset1:3
	ds_write2_b64 v4, v[71:72], v[69:70] offset0:4 offset1:5
	;; [unrolled: 1-line block ×7, first 2 shown]
	ds_write_b64 v4, v[89:90] offset:128
.LBB0_7:
	s_or_b32 exec_lo, exec_lo, s0
	v_add_nc_u32_e32 v4, 0xa00, v97
	v_add_nc_u32_e32 v5, 0x1600, v97
	s_waitcnt lgkmcnt(0)
	s_barrier
	buffer_gl0_inv
	ds_read2_b64 v[28:31], v97 offset1:187
	ds_read2_b64 v[36:39], v4 offset0:54 offset1:241
	ds_read2_b64 v[32:35], v5 offset0:44 offset1:231
	ds_read_b64 v[54:55], v97 offset:8976
	v_cmp_gt_u16_e64 s0, 0x44, v98
	s_and_saveexec_b32 s1, s0
	s_cbranch_execz .LBB0_9
; %bb.8:
	v_add_nc_u32_e32 v4, 0xe00, v97
	v_add_nc_u32_e32 v8, 0x1a00, v97
	;; [unrolled: 1-line block ×3, first 2 shown]
	ds_read2_b64 v[4:7], v4 offset0:45 offset1:232
	ds_read2_b64 v[8:11], v8 offset0:35 offset1:222
	;; [unrolled: 1-line block ×3, first 2 shown]
	ds_read_b64 v[40:41], v97 offset:9928
	s_waitcnt lgkmcnt(3)
	v_mov_b32_e32 v48, v6
	v_mov_b32_e32 v49, v7
	s_waitcnt lgkmcnt(2)
	v_mov_b32_e32 v42, v10
	v_mov_b32_e32 v43, v11
	;; [unrolled: 1-line block ×6, first 2 shown]
	s_waitcnt lgkmcnt(1)
	v_mov_b32_e32 v52, v14
	v_mov_b32_e32 v53, v15
	;; [unrolled: 1-line block ×4, first 2 shown]
.LBB0_9:
	s_or_b32 exec_lo, exec_lo, s1
	v_and_b32_e32 v4, 0xff, v98
	v_add_nc_u16 v5, v98, 0x77
	v_mov_b32_e32 v56, 0x77
	v_mul_lo_u16 v4, 0xf1, v4
	v_and_b32_e32 v6, 0xff, v5
	v_lshrrev_b16 v57, 12, v4
	v_mul_lo_u16 v4, v57, 17
	v_mul_u32_u24_sdwa v57, v57, v56 dst_sel:DWORD dst_unused:UNUSED_PAD src0_sel:WORD_0 src1_sel:DWORD
	v_sub_nc_u16 v4, v98, v4
	v_and_b32_e32 v58, 0xff, v4
	v_mul_lo_u16 v4, 0xf1, v6
	v_mul_u32_u24_e32 v6, 6, v58
	v_lshrrev_b16 v100, 12, v4
	v_add_lshl_u32 v102, v57, v58, 3
	v_lshlrev_b32_e32 v4, 3, v6
	v_mul_lo_u16 v6, v100, 17
	s_clause 0x1
	global_load_dwordx4 v[24:27], v4, s[2:3]
	global_load_dwordx4 v[20:23], v4, s[2:3] offset:16
	v_sub_nc_u16 v5, v5, v6
	global_load_dwordx4 v[16:19], v4, s[2:3] offset:32
	v_and_b32_e32 v101, 0xff, v5
	v_mul_u32_u24_e32 v4, 6, v101
	v_lshlrev_b32_e32 v12, 3, v4
	s_clause 0x2
	global_load_dwordx4 v[8:11], v12, s[2:3]
	global_load_dwordx4 v[4:7], v12, s[2:3] offset:16
	global_load_dwordx4 v[12:15], v12, s[2:3] offset:32
	s_load_dwordx4 s[4:7], s[6:7], 0x0
	s_waitcnt vmcnt(0) lgkmcnt(0)
	s_barrier
	buffer_gl0_inv
	v_mul_f32_e32 v57, v31, v25
	v_mul_f32_e32 v58, v30, v25
	;; [unrolled: 1-line block ×12, first 2 shown]
	v_fma_f32 v30, v30, v24, -v57
	v_fmac_f32_e32 v58, v31, v24
	v_fma_f32 v31, v36, v26, -v59
	v_fmac_f32_e32 v60, v37, v26
	;; [unrolled: 2-line block ×6, first 2 shown]
	v_mul_f32_e32 v35, v53, v9
	v_mul_f32_e32 v37, v52, v9
	;; [unrolled: 1-line block ×12, first 2 shown]
	v_fma_f32 v35, v52, v8, -v35
	v_fmac_f32_e32 v37, v53, v8
	v_fma_f32 v38, v50, v10, -v38
	v_fmac_f32_e32 v39, v51, v10
	v_fmac_f32_e32 v55, v49, v4
	;; [unrolled: 1-line block ×3, first 2 shown]
	v_fma_f32 v42, v42, v12, -v61
	v_fmac_f32_e32 v63, v43, v12
	v_fma_f32 v40, v40, v14, -v65
	v_fmac_f32_e32 v67, v41, v14
	v_add_f32_e32 v41, v30, v34
	v_add_f32_e32 v43, v58, v68
	v_sub_f32_e32 v30, v30, v34
	v_add_f32_e32 v47, v31, v33
	v_add_f32_e32 v49, v60, v66
	v_sub_f32_e32 v31, v31, v33
	v_sub_f32_e32 v33, v60, v66
	v_add_f32_e32 v50, v36, v32
	v_add_f32_e32 v51, v62, v64
	v_sub_f32_e32 v32, v32, v36
	v_sub_f32_e32 v36, v64, v62
	v_fma_f32 v48, v48, v4, -v54
	v_fma_f32 v46, v46, v6, -v57
	v_sub_f32_e32 v34, v58, v68
	v_add_f32_e32 v52, v47, v41
	v_add_f32_e32 v53, v49, v43
	v_sub_f32_e32 v57, v49, v43
	v_sub_f32_e32 v43, v43, v51
	;; [unrolled: 1-line block ×3, first 2 shown]
	v_add_f32_e32 v58, v32, v31
	v_sub_f32_e32 v61, v32, v31
	v_sub_f32_e32 v62, v36, v33
	;; [unrolled: 1-line block ×3, first 2 shown]
	v_add_f32_e32 v64, v35, v40
	v_add_f32_e32 v65, v37, v67
	v_sub_f32_e32 v35, v35, v40
	v_add_f32_e32 v40, v38, v42
	v_add_f32_e32 v66, v39, v63
	v_sub_f32_e32 v54, v47, v41
	v_sub_f32_e32 v41, v41, v50
	;; [unrolled: 1-line block ×3, first 2 shown]
	v_add_f32_e32 v60, v36, v33
	v_sub_f32_e32 v32, v30, v32
	v_sub_f32_e32 v36, v34, v36
	;; [unrolled: 1-line block ×6, first 2 shown]
	v_add_f32_e32 v63, v48, v46
	v_add_f32_e32 v67, v55, v59
	v_sub_f32_e32 v42, v46, v48
	v_sub_f32_e32 v46, v59, v55
	v_add_f32_e32 v48, v50, v52
	v_add_f32_e32 v50, v51, v53
	;; [unrolled: 1-line block ×3, first 2 shown]
	v_mul_f32_e32 v51, 0x3f4a47b2, v43
	v_mul_f32_e32 v53, 0x3d64c772, v49
	;; [unrolled: 1-line block ×5, first 2 shown]
	v_add_f32_e32 v61, v40, v64
	v_add_f32_e32 v62, v66, v65
	;; [unrolled: 1-line block ×3, first 2 shown]
	v_mul_f32_e32 v41, 0x3f4a47b2, v41
	v_mul_f32_e32 v52, 0x3d64c772, v47
	;; [unrolled: 1-line block ×3, first 2 shown]
	v_sub_f32_e32 v68, v40, v64
	v_sub_f32_e32 v69, v66, v65
	;; [unrolled: 1-line block ×6, first 2 shown]
	v_add_f32_e32 v70, v42, v38
	v_add_f32_e32 v71, v46, v39
	v_sub_f32_e32 v72, v42, v38
	v_sub_f32_e32 v73, v46, v39
	;; [unrolled: 1-line block ×5, first 2 shown]
	v_add_f32_e32 v42, v28, v48
	v_add_f32_e32 v43, v29, v50
	v_fmamk_f32 v49, v49, 0x3d64c772, v51
	v_fma_f32 v53, 0x3f3bfb3b, v57, -v53
	v_fma_f32 v51, 0xbf3bfb3b, v57, -v51
	v_fmamk_f32 v75, v36, 0x3eae86e6, v58
	v_fma_f32 v57, 0x3f5ff5aa, v33, -v58
	v_fma_f32 v76, 0xbeae86e6, v32, -v59
	v_add_f32_e32 v58, v63, v61
	v_add_f32_e32 v59, v67, v62
	v_sub_f32_e32 v46, v37, v46
	v_fmamk_f32 v47, v47, 0x3d64c772, v41
	v_fma_f32 v52, 0x3f3bfb3b, v54, -v52
	v_fma_f32 v41, 0xbf3bfb3b, v54, -v41
	v_fmamk_f32 v54, v32, 0x3eae86e6, v55
	v_fma_f32 v55, 0x3f5ff5aa, v31, -v55
	v_fma_f32 v36, 0xbeae86e6, v36, -v60
	v_add_f32_e32 v60, v70, v35
	v_mul_f32_e32 v31, 0x3f4a47b2, v64
	v_mul_f32_e32 v32, 0x3f4a47b2, v65
	;; [unrolled: 1-line block ×8, first 2 shown]
	v_fmamk_f32 v48, v48, 0xbf955555, v42
	v_fmamk_f32 v50, v50, 0xbf955555, v43
	v_add_f32_e32 v28, v44, v58
	v_add_f32_e32 v29, v45, v59
	;; [unrolled: 1-line block ×3, first 2 shown]
	v_fmac_f32_e32 v54, 0x3ee1c552, v30
	v_fmac_f32_e32 v75, 0x3ee1c552, v34
	v_fmac_f32_e32 v55, 0x3ee1c552, v30
	v_fmac_f32_e32 v57, 0x3ee1c552, v34
	v_fmac_f32_e32 v76, 0x3ee1c552, v30
	v_fmac_f32_e32 v36, 0x3ee1c552, v34
	v_fmamk_f32 v40, v40, 0x3d64c772, v31
	v_fmamk_f32 v65, v66, 0x3d64c772, v32
	v_fma_f32 v66, 0x3f3bfb3b, v68, -v33
	v_fma_f32 v67, 0x3f3bfb3b, v69, -v35
	;; [unrolled: 1-line block ×4, first 2 shown]
	v_fmamk_f32 v30, v74, 0x3eae86e6, v61
	v_fmamk_f32 v31, v46, 0x3eae86e6, v62
	v_fma_f32 v35, 0x3f5ff5aa, v38, -v61
	v_fma_f32 v33, 0x3f5ff5aa, v39, -v62
	;; [unrolled: 1-line block ×4, first 2 shown]
	v_add_f32_e32 v38, v47, v48
	v_add_f32_e32 v39, v49, v50
	;; [unrolled: 1-line block ×6, first 2 shown]
	v_fmamk_f32 v50, v58, 0xbf955555, v28
	v_fmamk_f32 v51, v59, 0xbf955555, v29
	v_fmac_f32_e32 v30, 0x3ee1c552, v60
	v_fmac_f32_e32 v31, 0x3ee1c552, v37
	v_fmac_f32_e32 v35, 0x3ee1c552, v60
	v_fmac_f32_e32 v33, 0x3ee1c552, v37
	v_fmac_f32_e32 v34, 0x3ee1c552, v60
	v_fmac_f32_e32 v32, 0x3ee1c552, v37
	v_add_f32_e32 v44, v75, v38
	v_sub_f32_e32 v45, v39, v54
	v_add_f32_e32 v46, v36, v41
	v_add_f32_e32 v53, v55, v61
	v_sub_f32_e32 v58, v61, v55
	v_sub_f32_e32 v59, v41, v36
	v_sub_f32_e32 v61, v38, v75
	v_add_f32_e32 v62, v54, v39
	v_add_f32_e32 v36, v40, v50
	;; [unrolled: 1-line block ×7, first 2 shown]
	v_sub_f32_e32 v47, v48, v76
	v_sub_f32_e32 v52, v49, v57
	v_add_f32_e32 v57, v57, v49
	v_add_f32_e32 v60, v76, v48
	;; [unrolled: 1-line block ×3, first 2 shown]
	v_sub_f32_e32 v55, v41, v35
	v_sub_f32_e32 v48, v37, v32
	v_add_f32_e32 v49, v34, v40
	v_sub_f32_e32 v50, v36, v31
	v_add_f32_e32 v51, v30, v39
	ds_write2_b64 v102, v[42:43], v[44:45] offset1:17
	ds_write2_b64 v102, v[46:47], v[52:53] offset0:34 offset1:51
	ds_write2_b64 v102, v[57:58], v[59:60] offset0:68 offset1:85
	ds_write_b64 v102, v[61:62] offset:816
	s_and_saveexec_b32 s1, s0
	s_cbranch_execz .LBB0_11
; %bb.10:
	v_mul_u32_u24_sdwa v43, v100, v56 dst_sel:DWORD dst_unused:UNUSED_PAD src0_sel:WORD_0 src1_sel:DWORD
	v_add_f32_e32 v42, v35, v41
	v_sub_f32_e32 v41, v38, v33
	v_sub_f32_e32 v33, v40, v34
	;; [unrolled: 1-line block ×3, first 2 shown]
	v_add_f32_e32 v34, v31, v36
	v_add_lshl_u32 v30, v43, v101, 3
	v_add_f32_e32 v32, v32, v37
	ds_write2_b64 v30, v[28:29], v[34:35] offset1:17
	ds_write2_b64 v30, v[32:33], v[41:42] offset0:34 offset1:51
	ds_write2_b64 v30, v[54:55], v[48:49] offset0:68 offset1:85
	ds_write_b64 v30, v[50:51] offset:816
.LBB0_11:
	s_or_b32 exec_lo, exec_lo, s1
	v_mad_u64_u32 v[36:37], null, 0x50, v98, s[2:3]
	s_waitcnt lgkmcnt(0)
	s_barrier
	buffer_gl0_inv
	v_add_nc_u32_e32 v77, 0x800, v97
	v_add_nc_u32_e32 v78, 0x1000, v97
	;; [unrolled: 1-line block ×3, first 2 shown]
	s_clause 0x4
	global_load_dwordx4 v[44:47], v[36:37], off offset:816
	global_load_dwordx4 v[40:43], v[36:37], off offset:832
	;; [unrolled: 1-line block ×5, first 2 shown]
	ds_read2_b64 v[56:59], v97 offset0:119 offset1:238
	v_add_nc_u32_e32 v76, 0x2000, v97
	ds_read2_b64 v[60:63], v77 offset0:101 offset1:220
	ds_read2_b64 v[64:67], v78 offset0:83 offset1:202
	;; [unrolled: 1-line block ×3, first 2 shown]
	ds_read_b64 v[52:53], v97
	v_add_nc_u32_e32 v80, 0x400, v97
	ds_read2_b64 v[72:75], v76 offset0:47 offset1:166
	v_add_nc_u32_e32 v83, 0xc00, v97
	v_add_nc_u32_e32 v81, 0x1400, v97
	;; [unrolled: 1-line block ×3, first 2 shown]
	s_waitcnt vmcnt(4) lgkmcnt(5)
	v_mul_f32_e32 v84, v57, v45
	v_mul_f32_e32 v85, v56, v45
	;; [unrolled: 1-line block ×4, first 2 shown]
	s_waitcnt vmcnt(3) lgkmcnt(4)
	v_mul_f32_e32 v91, v61, v41
	s_waitcnt vmcnt(2) lgkmcnt(3)
	v_mul_f32_e32 v95, v65, v33
	v_mul_f32_e32 v96, v64, v33
	s_waitcnt vmcnt(0) lgkmcnt(0)
	v_mul_f32_e32 v109, v73, v37
	v_mul_f32_e32 v111, v75, v39
	;; [unrolled: 1-line block ×3, first 2 shown]
	v_fma_f32 v56, v56, v44, -v84
	v_fmac_f32_e32 v85, v57, v44
	v_mul_f32_e32 v92, v60, v41
	v_mul_f32_e32 v93, v63, v43
	;; [unrolled: 1-line block ×10, first 2 shown]
	v_fma_f32 v57, v58, v46, -v86
	v_fmac_f32_e32 v87, v59, v46
	v_fma_f32 v58, v60, v40, -v91
	v_fma_f32 v60, v64, v32, -v95
	v_fmac_f32_e32 v96, v65, v32
	v_fma_f32 v84, v72, v36, -v109
	v_fma_f32 v86, v74, v38, -v111
	v_fmac_f32_e32 v112, v75, v38
	v_add_f32_e32 v64, v52, v56
	v_add_f32_e32 v65, v53, v85
	v_fmac_f32_e32 v92, v61, v40
	v_fma_f32 v59, v62, v42, -v93
	v_fmac_f32_e32 v94, v63, v42
	v_fma_f32 v61, v66, v34, -v103
	;; [unrolled: 2-line block ×4, first 2 shown]
	v_fmac_f32_e32 v108, v71, v30
	v_fmac_f32_e32 v110, v73, v36
	v_add_f32_e32 v66, v56, v86
	v_sub_f32_e32 v56, v56, v86
	v_sub_f32_e32 v68, v85, v112
	v_add_f32_e32 v69, v57, v84
	v_sub_f32_e32 v71, v57, v84
	v_add_f32_e32 v57, v64, v57
	v_add_f32_e32 v64, v65, v87
	;; [unrolled: 1-line block ×4, first 2 shown]
	v_sub_f32_e32 v72, v87, v110
	v_add_f32_e32 v73, v58, v63
	v_sub_f32_e32 v75, v58, v63
	v_sub_f32_e32 v85, v92, v108
	;; [unrolled: 1-line block ×6, first 2 shown]
	v_mul_f32_e32 v65, 0xbf0a6770, v68
	v_mul_f32_e32 v87, 0xbf0a6770, v56
	;; [unrolled: 1-line block ×6, first 2 shown]
	v_add_f32_e32 v57, v57, v58
	v_add_f32_e32 v58, v64, v92
	;; [unrolled: 1-line block ×7, first 2 shown]
	v_mul_f32_e32 v113, 0xbf68dda4, v68
	v_mul_f32_e32 v115, 0xbf7d64f0, v68
	;; [unrolled: 1-line block ×44, first 2 shown]
	v_fma_f32 v64, 0x3f575c64, v66, -v65
	v_fmamk_f32 v92, v67, 0x3f575c64, v87
	v_fma_f32 v87, 0x3f575c64, v67, -v87
	v_fmamk_f32 v152, v67, 0x3ed4b147, v114
	;; [unrolled: 2-line block ×5, first 2 shown]
	v_fma_f32 v56, 0xbf75a155, v67, -v56
	v_add_f32_e32 v57, v57, v59
	v_add_f32_e32 v58, v58, v94
	v_fmac_f32_e32 v65, 0x3f575c64, v66
	v_fma_f32 v151, 0x3ed4b147, v66, -v113
	v_fmac_f32_e32 v113, 0x3ed4b147, v66
	v_fma_f32 v153, 0xbe11bafb, v66, -v115
	;; [unrolled: 2-line block ×5, first 2 shown]
	v_fmamk_f32 v67, v70, 0x3ed4b147, v120
	v_fmac_f32_e32 v119, 0x3ed4b147, v69
	v_fma_f32 v120, 0x3ed4b147, v70, -v120
	v_fma_f32 v159, 0xbf27a4f4, v69, -v121
	v_fmamk_f32 v160, v70, 0xbf27a4f4, v122
	v_fmac_f32_e32 v121, 0xbf27a4f4, v69
	v_fma_f32 v122, 0xbf27a4f4, v70, -v122
	v_fma_f32 v161, 0xbf75a155, v69, -v123
	;; [unrolled: 4-line block ×15, first 2 shown]
	v_fmac_f32_e32 v143, 0xbf75a155, v105
	v_fma_f32 v183, 0x3f575c64, v105, -v145
	v_fmac_f32_e32 v145, 0x3f575c64, v105
	v_fma_f32 v185, 0xbf27a4f4, v105, -v147
	;; [unrolled: 2-line block ×4, first 2 shown]
	v_fmamk_f32 v190, v107, 0xbe11bafb, v109
	v_fmac_f32_e32 v111, 0xbe11bafb, v105
	v_fma_f32 v105, 0xbe11bafb, v107, -v109
	v_add_f32_e32 v59, v52, v64
	v_add_f32_e32 v64, v53, v92
	;; [unrolled: 1-line block ×13, first 2 shown]
	v_fmamk_f32 v95, v107, 0xbf75a155, v144
	v_fma_f32 v144, 0xbf75a155, v107, -v144
	v_fmamk_f32 v184, v107, 0x3f575c64, v146
	v_fma_f32 v146, 0x3f575c64, v107, -v146
	;; [unrolled: 2-line block ×4, first 2 shown]
	v_add_f32_e32 v65, v52, v65
	v_add_f32_e32 v92, v52, v151
	;; [unrolled: 1-line block ×99, first 2 shown]
	ds_write_b64 v97, v[58:59] offset:952
	ds_write2_b64 v80, v[60:61], v[62:63] offset0:110 offset1:229
	ds_write2_b64 v83, v[68:69], v[70:71] offset0:92 offset1:211
	;; [unrolled: 1-line block ×4, first 2 shown]
	ds_write_b64 v97, v[52:53] offset:9520
	ds_write_b64 v97, v[56:57]
	s_waitcnt lgkmcnt(0)
	s_barrier
	buffer_gl0_inv
	s_and_saveexec_b32 s2, vcc_lo
	s_cbranch_execz .LBB0_13
; %bb.12:
	v_add_co_u32 v87, s1, s12, v97
	v_add_co_ci_u32_e64 v103, null, s13, 0, s1
	v_add_co_u32 v83, s1, 0x2800, v87
	v_add_co_ci_u32_e64 v84, s1, 0, v103, s1
	v_add_co_u32 v85, s1, 0x28e8, v87
	v_add_co_ci_u32_e64 v86, s1, 0, v103, s1
	global_load_dwordx2 v[83:84], v[83:84], off offset:232
	v_add_co_u32 v91, s1, 0x3000, v87
	global_load_dwordx2 v[95:96], v[85:86], off offset:616
	v_add_co_ci_u32_e64 v92, s1, 0, v103, s1
	v_add_co_u32 v93, s1, 0x3800, v87
	v_add_co_ci_u32_e64 v94, s1, 0, v103, s1
	s_clause 0x3
	global_load_dwordx2 v[127:128], v[85:86], off offset:1232
	global_load_dwordx2 v[129:130], v[85:86], off offset:1848
	;; [unrolled: 1-line block ×4, first 2 shown]
	v_add_co_u32 v85, s1, 0x4000, v87
	v_add_co_ci_u32_e64 v86, s1, 0, v103, s1
	s_clause 0x4
	global_load_dwordx2 v[135:136], v[91:92], off offset:1880
	global_load_dwordx2 v[137:138], v[93:94], off offset:448
	;; [unrolled: 1-line block ×5, first 2 shown]
	v_add_co_u32 v91, s1, 0x4800, v87
	v_add_co_ci_u32_e64 v92, s1, 0, v103, s1
	s_clause 0x5
	global_load_dwordx2 v[145:146], v[85:86], off offset:864
	global_load_dwordx2 v[147:148], v[85:86], off offset:1480
	;; [unrolled: 1-line block ×6, first 2 shown]
	ds_read_b64 v[85:86], v97
	s_waitcnt vmcnt(16) lgkmcnt(0)
	v_mul_f32_e32 v87, v86, v84
	v_mul_f32_e32 v92, v85, v84
	v_fma_f32 v91, v85, v83, -v87
	v_fmac_f32_e32 v92, v86, v83
	ds_write_b64 v97, v[91:92]
	ds_read2_b64 v[83:86], v97 offset0:77 offset1:154
	ds_read2_b64 v[91:94], v80 offset0:103 offset1:180
	;; [unrolled: 1-line block ×8, first 2 shown]
	s_waitcnt vmcnt(15) lgkmcnt(7)
	v_mul_f32_e32 v158, v84, v96
	v_mul_f32_e32 v157, v83, v96
	s_waitcnt vmcnt(14)
	v_mul_f32_e32 v159, v86, v128
	v_mul_f32_e32 v96, v85, v128
	s_waitcnt vmcnt(13) lgkmcnt(6)
	v_mul_f32_e32 v160, v92, v130
	v_mul_f32_e32 v87, v91, v130
	s_waitcnt vmcnt(12)
	v_mul_f32_e32 v161, v94, v132
	v_mul_f32_e32 v128, v93, v132
	;; [unrolled: 6-line block ×8, first 2 shown]
	v_fma_f32 v156, v83, v95, -v158
	v_fmac_f32_e32 v157, v84, v95
	v_fma_f32 v95, v85, v127, -v159
	v_fmac_f32_e32 v96, v86, v127
	v_fma_f32 v86, v91, v129, -v160
	v_fmac_f32_e32 v87, v92, v129
	v_fma_f32 v127, v93, v131, -v161
	v_fmac_f32_e32 v128, v94, v131
	v_fma_f32 v129, v103, v133, -v162
	v_fmac_f32_e32 v130, v104, v133
	v_fma_f32 v131, v105, v135, -v163
	v_fmac_f32_e32 v132, v106, v135
	v_fma_f32 v133, v107, v137, -v164
	v_fmac_f32_e32 v134, v108, v137
	v_fma_f32 v135, v109, v139, -v165
	v_fmac_f32_e32 v136, v110, v139
	v_fma_f32 v137, v111, v141, -v166
	v_fmac_f32_e32 v138, v112, v141
	v_fma_f32 v139, v113, v143, -v167
	v_fmac_f32_e32 v140, v114, v143
	v_fma_f32 v141, v115, v145, -v168
	v_fmac_f32_e32 v142, v116, v145
	v_fma_f32 v143, v117, v147, -v169
	v_fmac_f32_e32 v144, v118, v147
	v_fma_f32 v145, v119, v149, -v170
	v_fmac_f32_e32 v146, v120, v149
	v_fma_f32 v147, v121, v151, -v171
	v_fmac_f32_e32 v148, v122, v151
	v_fma_f32 v149, v123, v153, -v172
	v_fmac_f32_e32 v150, v124, v153
	v_fma_f32 v151, v125, v155, -v154
	v_fmac_f32_e32 v152, v126, v155
	ds_write2_b64 v97, v[156:157], v[95:96] offset0:77 offset1:154
	ds_write2_b64 v80, v[86:87], v[127:128] offset0:103 offset1:180
	;; [unrolled: 1-line block ×8, first 2 shown]
.LBB0_13:
	s_or_b32 exec_lo, exec_lo, s2
	s_waitcnt lgkmcnt(0)
	s_barrier
	buffer_gl0_inv
	s_and_saveexec_b32 s1, vcc_lo
	s_cbranch_execz .LBB0_15
; %bb.14:
	v_add_nc_u32_e32 v0, 0x800, v97
	v_add_nc_u32_e32 v1, 0xc00, v97
	;; [unrolled: 1-line block ×4, first 2 shown]
	ds_read2_b64 v[56:59], v97 offset1:77
	ds_read2_b64 v[68:71], v0 offset0:52 offset1:129
	v_add_nc_u32_e32 v0, 0x2000, v97
	ds_read2_b64 v[60:63], v97 offset0:154 offset1:231
	ds_read2_b64 v[72:75], v1 offset0:78 offset1:155
	;; [unrolled: 1-line block ×6, first 2 shown]
	ds_read_b64 v[89:90], v97 offset:9856
.LBB0_15:
	s_or_b32 exec_lo, exec_lo, s1
	s_waitcnt lgkmcnt(0)
	v_sub_f32_e32 v110, v59, v90
	v_add_f32_e32 v115, v90, v59
	v_add_f32_e32 v103, v89, v58
	v_sub_f32_e32 v112, v61, v3
	v_sub_f32_e32 v104, v58, v89
	v_mul_f32_e32 v95, 0xbf7ee86f, v110
	v_mul_f32_e32 v96, 0x3dbcf732, v115
	;; [unrolled: 1-line block ×3, first 2 shown]
	v_add_f32_e32 v105, v2, v60
	v_add_f32_e32 v119, v3, v61
	v_fma_f32 v76, 0x3dbcf732, v103, -v95
	v_mul_f32_e32 v130, 0xbe3c28d5, v112
	v_mul_f32_e32 v94, 0xbe8c1d8e, v115
	;; [unrolled: 1-line block ×3, first 2 shown]
	v_fmamk_f32 v77, v104, 0xbf7ee86f, v96
	v_fma_f32 v78, 0xbe8c1d8e, v103, -v93
	v_mul_f32_e32 v138, 0xbf1a4643, v115
	v_add_f32_e32 v76, v56, v76
	v_sub_f32_e32 v106, v60, v2
	v_mul_f32_e32 v132, 0xbf7ba420, v119
	v_fma_f32 v107, 0xbf7ba420, v105, -v130
	v_mul_f32_e32 v135, 0x3f06c442, v112
	v_mul_f32_e32 v79, 0xbf06c442, v110
	v_add_f32_e32 v77, v57, v77
	v_add_f32_e32 v78, v56, v78
	v_fmamk_f32 v80, v104, 0xbf763a35, v94
	v_fma_f32 v81, 0xbf1a4643, v103, -v134
	v_fmamk_f32 v82, v104, 0xbf4c4adb, v138
	v_fmamk_f32 v108, v106, 0xbe3c28d5, v132
	v_add_f32_e32 v76, v107, v76
	v_mul_f32_e32 v139, 0xbf59a7d5, v119
	v_fma_f32 v107, 0xbf59a7d5, v105, -v135
	v_mul_f32_e32 v144, 0x3f763a35, v112
	v_mul_f32_e32 v147, 0xbe8c1d8e, v119
	v_fmamk_f32 v83, v103, 0xbf59a7d5, v79
	v_mul_f32_e32 v84, 0xbf59a7d5, v115
	v_add_f32_e32 v80, v57, v80
	v_add_f32_e32 v81, v56, v81
	;; [unrolled: 1-line block ×3, first 2 shown]
	v_mul_f32_e32 v86, 0xbe3c28d5, v110
	v_fma_f32 v79, 0xbf59a7d5, v103, -v79
	v_add_f32_e32 v77, v108, v77
	v_fmamk_f32 v108, v106, 0x3f06c442, v139
	v_add_f32_e32 v78, v107, v78
	v_fma_f32 v107, 0xbe8c1d8e, v105, -v144
	v_mul_f32_e32 v109, 0x3f65296c, v112
	v_fmamk_f32 v111, v106, 0x3f763a35, v147
	v_add_f32_e32 v83, v56, v83
	v_fmamk_f32 v85, v104, 0x3f06c442, v84
	v_mul_f32_e32 v87, 0xbf7ba420, v115
	v_fmamk_f32 v91, v103, 0xbf7ba420, v86
	v_add_f32_e32 v79, v56, v79
	v_add_f32_e32 v80, v108, v80
	v_mul_f32_e32 v108, 0x3ee437d1, v119
	v_add_f32_e32 v81, v107, v81
	v_fmamk_f32 v107, v105, 0x3ee437d1, v109
	v_add_f32_e32 v82, v111, v82
	v_mul_f32_e32 v111, 0x3eb8f4ab, v112
	v_fma_f32 v109, 0x3ee437d1, v105, -v109
	v_fmac_f32_e32 v84, 0xbf06c442, v104
	v_add_f32_e32 v85, v57, v85
	v_fmamk_f32 v92, v104, 0x3e3c28d5, v87
	v_add_f32_e32 v91, v56, v91
	v_fmac_f32_e32 v87, 0xbe3c28d5, v104
	v_fmamk_f32 v113, v106, 0xbf65296c, v108
	v_add_f32_e32 v83, v107, v83
	v_fmamk_f32 v107, v105, 0x3f6eb680, v111
	v_add_f32_e32 v79, v109, v79
	v_mul_f32_e32 v109, 0x3f6eb680, v119
	v_sub_f32_e32 v116, v63, v1
	v_add_f32_e32 v84, v57, v84
	v_add_f32_e32 v92, v57, v92
	;; [unrolled: 1-line block ×3, first 2 shown]
	v_fmac_f32_e32 v108, 0x3f65296c, v106
	v_add_f32_e32 v85, v113, v85
	v_add_f32_e32 v91, v107, v91
	;; [unrolled: 1-line block ×3, first 2 shown]
	v_fmamk_f32 v113, v106, 0xbeb8f4ab, v109
	v_add_f32_e32 v107, v0, v62
	v_mul_f32_e32 v136, 0x3f763a35, v116
	v_fmac_f32_e32 v109, 0x3eb8f4ab, v106
	v_mul_f32_e32 v145, 0x3f2c7751, v116
	v_fma_f32 v86, 0xbf7ba420, v103, -v86
	v_add_f32_e32 v84, v108, v84
	v_sub_f32_e32 v108, v62, v0
	v_mul_f32_e32 v140, 0xbe8c1d8e, v123
	v_add_f32_e32 v92, v113, v92
	v_fma_f32 v113, 0xbe8c1d8e, v107, -v136
	v_add_f32_e32 v87, v109, v87
	v_fma_f32 v109, 0x3f3d2fb0, v107, -v145
	v_mul_f32_e32 v146, 0x3f3d2fb0, v123
	v_mul_f32_e32 v151, 0xbeb8f4ab, v116
	v_add_f32_e32 v86, v56, v86
	v_fma_f32 v111, 0x3f6eb680, v105, -v111
	v_fmamk_f32 v114, v108, 0x3f763a35, v140
	v_add_f32_e32 v76, v113, v76
	v_mul_f32_e32 v154, 0x3f6eb680, v123
	v_add_f32_e32 v78, v109, v78
	v_fmamk_f32 v109, v108, 0x3f2c7751, v146
	v_fma_f32 v113, 0x3f6eb680, v107, -v151
	v_mul_f32_e32 v118, 0x3dbcf732, v123
	v_add_f32_e32 v86, v111, v86
	v_add_f32_e32 v77, v114, v77
	v_mul_f32_e32 v111, 0xbf7ee86f, v116
	v_fmamk_f32 v114, v108, 0xbeb8f4ab, v154
	v_add_f32_e32 v80, v109, v80
	v_add_f32_e32 v81, v113, v81
	v_fmamk_f32 v109, v108, 0x3f7ee86f, v118
	v_mul_f32_e32 v113, 0xbf06c442, v116
	v_fmamk_f32 v117, v107, 0x3dbcf732, v111
	v_add_f32_e32 v82, v114, v82
	v_mul_f32_e32 v114, 0xbf59a7d5, v123
	v_fma_f32 v111, 0x3dbcf732, v107, -v111
	v_add_f32_e32 v85, v109, v85
	v_fmamk_f32 v109, v107, 0xbf59a7d5, v113
	v_sub_f32_e32 v120, v69, v51
	v_add_f32_e32 v127, v51, v69
	v_add_f32_e32 v83, v117, v83
	v_fmamk_f32 v117, v108, 0x3f06c442, v114
	v_add_f32_e32 v79, v111, v79
	v_add_f32_e32 v91, v109, v91
	;; [unrolled: 1-line block ×3, first 2 shown]
	v_mul_f32_e32 v142, 0x3eb8f4ab, v120
	v_fma_f32 v113, 0xbf59a7d5, v107, -v113
	v_fmac_f32_e32 v114, 0xbf06c442, v108
	v_sub_f32_e32 v111, v68, v50
	v_mul_f32_e32 v148, 0x3f6eb680, v127
	v_mul_f32_e32 v150, 0xbf65296c, v120
	v_add_f32_e32 v92, v117, v92
	v_fma_f32 v117, 0x3f6eb680, v109, -v142
	v_add_f32_e32 v86, v113, v86
	v_add_f32_e32 v87, v114, v87
	v_fmamk_f32 v113, v111, 0x3eb8f4ab, v148
	v_mul_f32_e32 v152, 0x3ee437d1, v127
	v_fma_f32 v114, 0x3ee437d1, v109, -v150
	v_mul_f32_e32 v157, 0xbf06c442, v120
	v_fmac_f32_e32 v118, 0xbf7ee86f, v108
	v_add_f32_e32 v76, v117, v76
	v_add_f32_e32 v77, v113, v77
	v_mul_f32_e32 v159, 0xbf59a7d5, v127
	v_fmamk_f32 v113, v111, 0xbf65296c, v152
	v_add_f32_e32 v78, v114, v78
	v_fma_f32 v114, 0xbf59a7d5, v109, -v157
	v_mul_f32_e32 v117, 0x3f4c4adb, v120
	v_add_f32_e32 v84, v118, v84
	v_fmamk_f32 v118, v111, 0xbf06c442, v159
	v_add_f32_e32 v80, v113, v80
	v_mul_f32_e32 v113, 0xbf1a4643, v127
	v_add_f32_e32 v81, v114, v81
	v_fmamk_f32 v114, v109, 0xbf1a4643, v117
	v_fma_f32 v117, 0xbf1a4643, v109, -v117
	v_add_f32_e32 v82, v118, v82
	v_mul_f32_e32 v118, 0x3f2c7751, v120
	v_fmamk_f32 v121, v111, 0xbf4c4adb, v113
	v_fmac_f32_e32 v113, 0x3f4c4adb, v111
	v_add_f32_e32 v79, v117, v79
	v_mul_f32_e32 v117, 0x3f3d2fb0, v127
	v_sub_f32_e32 v124, v71, v49
	v_add_f32_e32 v83, v114, v83
	v_fmamk_f32 v114, v109, 0x3f3d2fb0, v118
	v_add_f32_e32 v85, v121, v85
	v_add_f32_e32 v84, v113, v84
	;; [unrolled: 1-line block ×3, first 2 shown]
	v_fmamk_f32 v121, v111, 0xbf2c7751, v117
	v_add_f32_e32 v113, v48, v70
	v_mul_f32_e32 v149, 0xbf65296c, v124
	v_fmac_f32_e32 v117, 0x3f2c7751, v111
	v_mul_f32_e32 v156, 0xbe3c28d5, v124
	v_add_f32_e32 v91, v114, v91
	v_sub_f32_e32 v114, v70, v48
	v_mul_f32_e32 v153, 0x3ee437d1, v128
	v_add_f32_e32 v92, v121, v92
	v_fma_f32 v121, 0x3ee437d1, v113, -v149
	v_add_f32_e32 v87, v117, v87
	v_fma_f32 v117, 0xbf7ba420, v113, -v156
	v_mul_f32_e32 v158, 0xbf7ba420, v128
	v_mul_f32_e32 v163, 0x3f7ee86f, v124
	v_fma_f32 v118, 0x3f3d2fb0, v109, -v118
	v_fmamk_f32 v122, v114, 0xbf65296c, v153
	v_add_f32_e32 v76, v121, v76
	v_mul_f32_e32 v165, 0x3dbcf732, v128
	v_add_f32_e32 v78, v117, v78
	v_fmamk_f32 v117, v114, 0xbe3c28d5, v158
	v_fma_f32 v121, 0x3dbcf732, v113, -v163
	v_mul_f32_e32 v126, 0x3f6eb680, v128
	v_add_f32_e32 v86, v118, v86
	v_add_f32_e32 v77, v122, v77
	v_mul_f32_e32 v118, 0xbeb8f4ab, v124
	v_fmamk_f32 v122, v114, 0x3f7ee86f, v165
	v_add_f32_e32 v80, v117, v80
	v_add_f32_e32 v81, v121, v81
	v_fmamk_f32 v117, v114, 0x3eb8f4ab, v126
	v_mul_f32_e32 v121, 0xbf4c4adb, v124
	v_fmamk_f32 v125, v113, 0x3f6eb680, v118
	v_add_f32_e32 v82, v122, v82
	v_mul_f32_e32 v122, 0xbf1a4643, v128
	v_fma_f32 v118, 0x3f6eb680, v113, -v118
	v_add_f32_e32 v85, v117, v85
	v_fmamk_f32 v117, v113, 0xbf1a4643, v121
	v_sub_f32_e32 v129, v73, v55
	v_add_f32_e32 v131, v55, v73
	v_add_f32_e32 v83, v125, v83
	v_fmamk_f32 v125, v114, 0x3f4c4adb, v122
	v_add_f32_e32 v79, v118, v79
	v_add_f32_e32 v91, v117, v91
	;; [unrolled: 1-line block ×3, first 2 shown]
	v_mul_f32_e32 v155, 0xbf06c442, v129
	v_fma_f32 v121, 0xbf1a4643, v113, -v121
	v_fmac_f32_e32 v122, 0xbf4c4adb, v114
	v_sub_f32_e32 v118, v72, v54
	v_mul_f32_e32 v160, 0xbf59a7d5, v131
	v_mul_f32_e32 v162, 0x3f7ee86f, v129
	v_fmac_f32_e32 v126, 0xbeb8f4ab, v114
	v_add_f32_e32 v92, v125, v92
	v_fma_f32 v125, 0xbf59a7d5, v117, -v155
	v_add_f32_e32 v86, v121, v86
	v_add_f32_e32 v87, v122, v87
	v_fmamk_f32 v121, v118, 0xbf06c442, v160
	v_mul_f32_e32 v164, 0x3dbcf732, v131
	v_fma_f32 v122, 0x3dbcf732, v117, -v162
	v_mul_f32_e32 v169, 0xbf2c7751, v129
	v_mul_f32_e32 v172, 0x3f3d2fb0, v131
	v_add_f32_e32 v84, v126, v84
	v_add_f32_e32 v76, v125, v76
	;; [unrolled: 1-line block ×3, first 2 shown]
	v_fmamk_f32 v121, v118, 0x3f7ee86f, v164
	v_add_f32_e32 v78, v122, v78
	v_fma_f32 v122, 0x3f3d2fb0, v117, -v169
	v_mul_f32_e32 v125, 0xbe3c28d5, v129
	v_fmamk_f32 v126, v118, 0xbf2c7751, v172
	v_add_f32_e32 v80, v121, v80
	v_mul_f32_e32 v121, 0xbf7ba420, v131
	v_add_f32_e32 v81, v122, v81
	v_fmamk_f32 v122, v117, 0xbf7ba420, v125
	v_add_f32_e32 v82, v126, v82
	v_mul_f32_e32 v126, 0x3f65296c, v129
	v_fmamk_f32 v133, v118, 0x3e3c28d5, v121
	v_fma_f32 v125, 0xbf7ba420, v117, -v125
	v_add_f32_e32 v83, v122, v83
	v_add_f32_e32 v137, v53, v75
	v_fmamk_f32 v122, v117, 0x3ee437d1, v126
	v_fmac_f32_e32 v121, 0xbe3c28d5, v118
	v_add_f32_e32 v85, v133, v85
	v_add_f32_e32 v79, v125, v79
	v_mul_f32_e32 v125, 0x3ee437d1, v131
	v_add_f32_e32 v91, v122, v91
	v_sub_f32_e32 v133, v75, v53
	v_sub_f32_e32 v122, v74, v52
	v_mul_f32_e32 v167, 0xbf1a4643, v137
	v_fma_f32 v126, 0x3ee437d1, v117, -v126
	v_add_f32_e32 v84, v121, v84
	v_fmamk_f32 v141, v118, 0xbf65296c, v125
	v_add_f32_e32 v121, v52, v74
	v_mul_f32_e32 v161, 0x3f4c4adb, v133
	v_fmac_f32_e32 v125, 0x3f65296c, v118
	v_fmamk_f32 v143, v122, 0x3f4c4adb, v167
	v_mul_f32_e32 v168, 0xbeb8f4ab, v133
	v_add_f32_e32 v86, v126, v86
	v_mul_f32_e32 v126, 0x3f2c7751, v133
	v_add_f32_e32 v92, v141, v92
	v_fma_f32 v141, 0xbf1a4643, v121, -v161
	v_add_f32_e32 v87, v125, v87
	v_add_f32_e32 v77, v143, v77
	v_fma_f32 v125, 0x3f6eb680, v121, -v168
	v_mul_f32_e32 v170, 0x3f6eb680, v137
	v_mul_f32_e32 v174, 0xbe3c28d5, v133
	;; [unrolled: 1-line block ×3, first 2 shown]
	v_fmamk_f32 v143, v121, 0x3f3d2fb0, v126
	v_add_f32_e32 v76, v141, v76
	v_add_f32_e32 v179, v125, v78
	v_fmamk_f32 v78, v122, 0xbeb8f4ab, v170
	v_fma_f32 v125, 0xbf7ba420, v121, -v174
	v_fmamk_f32 v141, v122, 0xbe3c28d5, v176
	v_mul_f32_e32 v166, 0x3f3d2fb0, v137
	v_add_f32_e32 v181, v143, v83
	v_mul_f32_e32 v83, 0xbe8c1d8e, v137
	v_add_f32_e32 v80, v78, v80
	v_add_f32_e32 v81, v125, v81
	;; [unrolled: 1-line block ×3, first 2 shown]
	v_fmamk_f32 v78, v122, 0xbf2c7751, v166
	v_mul_f32_e32 v82, 0xbf763a35, v133
	v_fma_f32 v125, 0x3f3d2fb0, v121, -v126
	v_fmac_f32_e32 v166, 0x3f2c7751, v122
	v_fmamk_f32 v126, v122, 0x3f763a35, v83
	v_sub_f32_e32 v141, v65, v67
	v_add_f32_e32 v143, v67, v65
	v_add_f32_e32 v85, v78, v85
	v_fmamk_f32 v78, v121, 0xbe8c1d8e, v82
	v_add_f32_e32 v182, v125, v79
	v_add_f32_e32 v84, v166, v84
	;; [unrolled: 1-line block ×4, first 2 shown]
	v_mul_f32_e32 v166, 0x3f2c7751, v141
	v_sub_f32_e32 v126, v64, v66
	v_mul_f32_e32 v171, 0x3f3d2fb0, v143
	v_add_f32_e32 v183, v78, v91
	v_fma_f32 v78, 0xbe8c1d8e, v121, -v82
	v_fma_f32 v79, 0x3f3d2fb0, v125, -v166
	v_mul_f32_e32 v173, 0xbf4c4adb, v141
	v_fmamk_f32 v82, v126, 0x3f2c7751, v171
	v_mul_f32_e32 v175, 0xbf1a4643, v143
	v_fmac_f32_e32 v83, 0xbf763a35, v122
	v_add_f32_e32 v86, v78, v86
	v_add_f32_e32 v78, v79, v76
	v_fma_f32 v76, 0xbf1a4643, v125, -v173
	v_add_f32_e32 v79, v82, v77
	v_mul_f32_e32 v177, 0x3f65296c, v141
	v_mul_f32_e32 v178, 0x3ee437d1, v143
	v_fmamk_f32 v77, v126, 0xbf4c4adb, v175
	v_mul_f32_e32 v91, 0xbf763a35, v141
	v_add_f32_e32 v87, v83, v87
	v_add_f32_e32 v76, v76, v179
	v_fma_f32 v82, 0x3ee437d1, v125, -v177
	v_fmamk_f32 v83, v126, 0x3f65296c, v178
	v_mul_f32_e32 v179, 0xbe8c1d8e, v143
	v_add_f32_e32 v77, v77, v80
	v_fmamk_f32 v80, v125, 0xbe8c1d8e, v91
	v_add_f32_e32 v82, v82, v81
	v_add_f32_e32 v83, v83, v180
	v_fmamk_f32 v81, v126, 0x3f763a35, v179
	v_fma_f32 v180, 0xbe8c1d8e, v125, -v91
	v_add_f32_e32 v91, v80, v181
	v_mul_f32_e32 v181, 0x3f7ee86f, v141
	v_mul_f32_e32 v185, 0x3dbcf732, v143
	v_add_f32_e32 v92, v81, v85
	v_add_f32_e32 v80, v180, v182
	v_fmac_f32_e32 v179, 0xbf763a35, v126
	v_fmamk_f32 v85, v125, 0x3dbcf732, v181
	v_fmamk_f32 v180, v126, 0xbf7ee86f, v185
	v_fma_f32 v181, 0x3dbcf732, v125, -v181
	v_fmac_f32_e32 v185, 0x3f7ee86f, v126
	v_add_f32_e32 v81, v179, v84
	v_add_f32_e32 v84, v85, v183
	;; [unrolled: 1-line block ×5, first 2 shown]
	s_barrier
	buffer_gl0_inv
	s_and_saveexec_b32 s1, vcc_lo
	s_cbranch_execz .LBB0_17
; %bb.16:
	v_mul_f32_e32 v184, 0xbf4c4adb, v104
	v_mul_f32_e32 v190, 0x3f763a35, v106
	;; [unrolled: 1-line block ×5, first 2 shown]
	v_sub_f32_e32 v138, v138, v184
	v_sub_f32_e32 v147, v147, v190
	v_mul_f32_e32 v202, 0xbf06c442, v111
	v_add_f32_e32 v134, v183, v134
	v_mul_f32_e32 v195, 0x3f6eb680, v107
	v_add_f32_e32 v138, v57, v138
	;; [unrolled: 2-line block ×3, first 2 shown]
	v_add_f32_e32 v134, v56, v134
	v_mul_f32_e32 v201, 0xbf59a7d5, v109
	v_add_f32_e32 v138, v147, v138
	v_sub_f32_e32 v147, v154, v196
	v_mul_f32_e32 v212, 0xbf2c7751, v118
	v_add_f32_e32 v134, v144, v134
	v_add_f32_e32 v144, v195, v151
	v_mul_f32_e32 v182, 0xbf763a35, v104
	v_add_f32_e32 v138, v147, v138
	v_sub_f32_e32 v147, v159, v202
	v_mul_f32_e32 v207, 0x3dbcf732, v113
	v_mul_f32_e32 v159, 0xbe3c28d5, v122
	v_add_f32_e32 v134, v144, v134
	v_add_f32_e32 v144, v201, v157
	;; [unrolled: 1-line block ×3, first 2 shown]
	v_sub_f32_e32 v147, v165, v208
	v_mul_f32_e32 v181, 0xbe8c1d8e, v103
	v_mul_f32_e32 v188, 0x3f06c442, v106
	;; [unrolled: 1-line block ×3, first 2 shown]
	v_add_f32_e32 v134, v144, v134
	v_add_f32_e32 v138, v147, v138
	v_sub_f32_e32 v147, v172, v212
	v_mul_f32_e32 v172, 0x3f65296c, v126
	v_add_f32_e32 v144, v207, v163
	v_sub_f32_e32 v94, v94, v182
	v_mul_f32_e32 v187, 0xbf59a7d5, v105
	;; [unrolled: 3-line block ×3, first 2 shown]
	v_mul_f32_e32 v196, 0xbf7ba420, v121
	v_add_f32_e32 v134, v144, v134
	v_add_f32_e32 v144, v190, v169
	;; [unrolled: 1-line block ×3, first 2 shown]
	v_sub_f32_e32 v147, v178, v172
	v_add_f32_e32 v163, v57, v94
	v_sub_f32_e32 v139, v139, v188
	v_add_f32_e32 v93, v181, v93
	v_mul_f32_e32 v180, 0xbf7ee86f, v104
	v_mul_f32_e32 v193, 0x3f3d2fb0, v107
	;; [unrolled: 1-line block ×4, first 2 shown]
	v_add_f32_e32 v94, v147, v138
	v_add_f32_e32 v134, v144, v134
	;; [unrolled: 1-line block ×4, first 2 shown]
	v_sub_f32_e32 v144, v146, v194
	v_add_f32_e32 v93, v56, v93
	v_add_f32_e32 v135, v187, v135
	v_mul_f32_e32 v186, 0xbe3c28d5, v106
	v_mul_f32_e32 v199, 0x3ee437d1, v109
	;; [unrolled: 1-line block ×3, first 2 shown]
	v_add_f32_e32 v134, v138, v134
	v_add_f32_e32 v138, v159, v177
	;; [unrolled: 1-line block ×3, first 2 shown]
	v_sub_f32_e32 v144, v152, v200
	v_add_f32_e32 v135, v135, v93
	v_add_f32_e32 v145, v193, v145
	v_sub_f32_e32 v96, v96, v180
	v_mul_f32_e32 v192, 0x3f763a35, v108
	v_mul_f32_e32 v205, 0xbf7ba420, v113
	;; [unrolled: 1-line block ×3, first 2 shown]
	v_add_f32_e32 v93, v138, v134
	v_add_f32_e32 v134, v144, v139
	v_sub_f32_e32 v138, v158, v206
	v_add_f32_e32 v135, v145, v135
	v_add_f32_e32 v139, v199, v150
	;; [unrolled: 1-line block ×3, first 2 shown]
	v_sub_f32_e32 v132, v132, v186
	v_mul_f32_e32 v179, 0x3dbcf732, v103
	v_mul_f32_e32 v198, 0x3eb8f4ab, v111
	;; [unrolled: 1-line block ×4, first 2 shown]
	v_add_f32_e32 v134, v138, v134
	v_sub_f32_e32 v138, v164, v211
	v_add_f32_e32 v135, v139, v135
	v_add_f32_e32 v139, v205, v156
	v_add_f32_e32 v96, v132, v96
	v_sub_f32_e32 v132, v140, v192
	v_mul_f32_e32 v185, 0xbf7ba420, v105
	v_mul_f32_e32 v204, 0xbf65296c, v114
	;; [unrolled: 1-line block ×3, first 2 shown]
	v_add_f32_e32 v134, v138, v134
	v_sub_f32_e32 v138, v170, v183
	v_add_f32_e32 v135, v139, v135
	v_add_f32_e32 v139, v210, v162
	;; [unrolled: 1-line block ×3, first 2 shown]
	v_sub_f32_e32 v132, v148, v198
	v_add_f32_e32 v95, v179, v95
	v_mul_f32_e32 v191, 0xbe8c1d8e, v107
	v_mul_f32_e32 v209, 0xbf06c442, v118
	;; [unrolled: 1-line block ×3, first 2 shown]
	v_add_f32_e32 v134, v138, v134
	v_sub_f32_e32 v138, v175, v157
	v_add_f32_e32 v135, v139, v135
	v_add_f32_e32 v132, v132, v96
	v_sub_f32_e32 v139, v153, v204
	v_add_f32_e32 v95, v56, v95
	v_add_f32_e32 v130, v185, v130
	v_mul_f32_e32 v197, 0x3f6eb680, v109
	v_mul_f32_e32 v214, 0x3f4c4adb, v122
	;; [unrolled: 1-line block ×3, first 2 shown]
	v_add_f32_e32 v140, v154, v168
	v_add_f32_e32 v96, v138, v134
	;; [unrolled: 1-line block ×3, first 2 shown]
	v_sub_f32_e32 v134, v160, v209
	v_add_f32_e32 v95, v130, v95
	v_add_f32_e32 v130, v191, v136
	v_mul_f32_e32 v203, 0x3ee437d1, v113
	v_add_f32_e32 v135, v140, v135
	v_add_f32_e32 v136, v165, v173
	;; [unrolled: 1-line block ×3, first 2 shown]
	v_sub_f32_e32 v134, v167, v214
	v_mul_f32_e32 v140, 0x3ee437d1, v115
	v_add_f32_e32 v130, v130, v95
	v_add_f32_e32 v138, v197, v142
	v_mul_f32_e32 v184, 0xbf59a7d5, v117
	v_mul_f32_e32 v151, 0x3f2c7751, v126
	v_add_f32_e32 v95, v136, v135
	v_add_f32_e32 v132, v134, v132
	v_fmamk_f32 v134, v104, 0x3f65296c, v140
	v_mul_f32_e32 v136, 0xbf1a4643, v119
	v_add_f32_e32 v130, v138, v130
	v_add_f32_e32 v135, v203, v149
	v_mul_f32_e32 v213, 0xbf1a4643, v121
	v_sub_f32_e32 v138, v171, v151
	v_add_f32_e32 v134, v57, v134
	v_fmamk_f32 v139, v106, 0x3f4c4adb, v136
	v_mul_f32_e32 v142, 0xbf7ba420, v123
	v_add_f32_e32 v130, v135, v130
	v_add_f32_e32 v144, v184, v155
	;; [unrolled: 1-line block ×4, first 2 shown]
	v_fmamk_f32 v134, v108, 0xbe3c28d5, v142
	v_mul_f32_e32 v145, 0xbe8c1d8e, v127
	v_add_f32_e32 v130, v144, v130
	v_add_f32_e32 v138, v213, v161
	v_mul_f32_e32 v144, 0xbf65296c, v110
	v_add_f32_e32 v132, v134, v132
	v_fmamk_f32 v134, v111, 0xbf763a35, v145
	v_mul_f32_e32 v146, 0x3f3d2fb0, v128
	v_add_f32_e32 v130, v138, v130
	v_fmamk_f32 v138, v103, 0x3ee437d1, v144
	v_mul_f32_e32 v147, 0xbf4c4adb, v112
	v_mul_f32_e32 v189, 0x3f3d2fb0, v125
	v_add_f32_e32 v132, v134, v132
	v_fmamk_f32 v134, v114, 0xbf2c7751, v146
	v_mul_f32_e32 v148, 0x3f6eb680, v131
	v_add_f32_e32 v138, v56, v138
	v_fmamk_f32 v139, v105, 0xbf1a4643, v147
	;; [unrolled: 3-line block ×4, first 2 shown]
	v_mul_f32_e32 v151, 0x3f763a35, v120
	v_add_f32_e32 v152, v189, v166
	v_add_f32_e32 v132, v134, v132
	v_fmamk_f32 v153, v122, 0x3f7ee86f, v150
	v_add_f32_e32 v138, v139, v138
	v_fmamk_f32 v139, v109, 0xbe8c1d8e, v151
	v_mul_f32_e32 v154, 0x3f2c7751, v124
	v_add_f32_e32 v134, v152, v130
	v_mul_f32_e32 v152, 0x3f3d2fb0, v115
	v_add_f32_e32 v130, v153, v132
	v_add_f32_e32 v132, v139, v138
	v_fmamk_f32 v138, v113, 0x3f3d2fb0, v154
	v_mul_f32_e32 v153, 0xbeb8f4ab, v129
	v_mul_f32_e32 v155, 0xbf59a7d5, v143
	v_fmamk_f32 v139, v104, 0x3f2c7751, v152
	v_mul_f32_e32 v156, 0x3dbcf732, v119
	v_add_f32_e32 v132, v138, v132
	v_fmamk_f32 v138, v117, 0x3f6eb680, v153
	v_mul_f32_e32 v157, 0xbf7ee86f, v133
	v_add_f32_e32 v139, v57, v139
	v_fmamk_f32 v158, v106, 0x3f7ee86f, v156
	v_mul_f32_e32 v159, 0xbf1a4643, v123
	v_fmamk_f32 v160, v126, 0x3f06c442, v155
	v_add_f32_e32 v132, v138, v132
	v_fmamk_f32 v138, v121, 0x3dbcf732, v157
	v_add_f32_e32 v158, v158, v139
	v_fmamk_f32 v161, v108, 0x3f4c4adb, v159
	v_mul_f32_e32 v162, 0xbf7ba420, v127
	v_add_f32_e32 v139, v160, v130
	v_mul_f32_e32 v160, 0xbf2c7751, v110
	v_add_f32_e32 v130, v138, v132
	v_add_f32_e32 v132, v161, v158
	v_fmamk_f32 v138, v111, 0x3e3c28d5, v162
	v_mul_f32_e32 v158, 0xbf59a7d5, v128
	v_fmamk_f32 v163, v103, 0x3f3d2fb0, v160
	v_mul_f32_e32 v164, 0xbf7ee86f, v112
	v_mul_f32_e32 v165, 0xbe8c1d8e, v131
	v_add_f32_e32 v132, v138, v132
	v_fmamk_f32 v138, v114, 0xbf06c442, v158
	v_add_f32_e32 v163, v56, v163
	v_fmamk_f32 v166, v105, 0x3dbcf732, v164
	v_mul_f32_e32 v167, 0xbf4c4adb, v116
	v_mul_f32_e32 v161, 0xbf06c442, v141
	v_add_f32_e32 v132, v138, v132
	v_fmamk_f32 v138, v118, 0xbf763a35, v165
	v_mul_f32_e32 v168, 0x3ee437d1, v137
	v_add_f32_e32 v163, v166, v163
	v_fmamk_f32 v166, v107, 0xbf1a4643, v167
	;; [unrolled: 3-line block ×3, first 2 shown]
	v_add_f32_e32 v132, v138, v132
	v_fmamk_f32 v171, v122, 0xbf65296c, v168
	v_add_f32_e32 v163, v166, v163
	v_fmamk_f32 v166, v109, 0xbf7ba420, v169
	v_mul_f32_e32 v172, 0x3f06c442, v124
	v_add_f32_e32 v59, v61, v59
	v_add_f32_e32 v58, v58, v56
	;; [unrolled: 1-line block ×5, first 2 shown]
	v_fmamk_f32 v163, v113, 0xbf59a7d5, v172
	v_mul_f32_e32 v166, 0x3f763a35, v129
	v_add_f32_e32 v59, v63, v59
	v_add_f32_e32 v58, v60, v58
	v_mul_f32_e32 v170, 0x3f6eb680, v143
	v_add_f32_e32 v132, v163, v132
	v_fmamk_f32 v163, v117, 0xbe8c1d8e, v166
	v_mul_f32_e32 v173, 0x3f65296c, v133
	v_add_f32_e32 v59, v69, v59
	v_add_f32_e32 v58, v62, v58
	v_fmamk_f32 v175, v126, 0xbeb8f4ab, v170
	v_add_f32_e32 v163, v163, v132
	v_fmamk_f32 v176, v121, 0x3ee437d1, v173
	v_mul_f32_e32 v61, 0x3eb8f4ab, v141
	v_add_f32_e32 v59, v71, v59
	v_add_f32_e32 v58, v68, v58
	;; [unrolled: 1-line block ×4, first 2 shown]
	v_fmamk_f32 v63, v125, 0x3f6eb680, v61
	v_mul_f32_e32 v69, 0xbeb8f4ab, v110
	v_add_f32_e32 v59, v73, v59
	v_add_f32_e32 v58, v70, v58
	v_mul_f32_e32 v60, 0xbf1a4643, v131
	v_add_f32_e32 v131, v63, v130
	v_fmamk_f32 v63, v103, 0x3f6eb680, v69
	v_mul_f32_e32 v68, 0xbf2c7751, v112
	v_add_f32_e32 v59, v75, v59
	v_add_f32_e32 v58, v72, v58
	v_mul_f32_e32 v72, 0xbf65296c, v116
	v_add_f32_e32 v63, v56, v63
	v_fmamk_f32 v71, v105, 0x3f3d2fb0, v68
	v_add_f32_e32 v59, v65, v59
	v_add_f32_e32 v58, v74, v58
	v_fmamk_f32 v65, v107, 0x3ee437d1, v72
	v_mul_f32_e32 v115, 0x3f6eb680, v115
	v_add_f32_e32 v63, v71, v63
	v_mul_f32_e32 v71, 0xbf7ee86f, v120
	v_add_f32_e32 v59, v67, v59
	v_add_f32_e32 v58, v64, v58
	v_fmac_f32_e32 v140, 0xbf65296c, v104
	v_add_f32_e32 v63, v65, v63
	v_fmamk_f32 v64, v109, 0x3dbcf732, v71
	v_mul_f32_e32 v65, 0xbf763a35, v124
	v_add_f32_e32 v53, v53, v59
	v_add_f32_e32 v58, v66, v58
	v_fmamk_f32 v171, v104, 0x3eb8f4ab, v115
	v_add_f32_e32 v63, v64, v63
	v_fmamk_f32 v64, v113, 0xbe8c1d8e, v65
	v_add_f32_e32 v53, v55, v53
	v_add_f32_e32 v52, v52, v58
	v_mul_f32_e32 v55, 0xbf4c4adb, v129
	v_mul_f32_e32 v119, 0x3f3d2fb0, v119
	v_add_f32_e32 v63, v64, v63
	v_add_f32_e32 v53, v49, v53
	;; [unrolled: 1-line block ×3, first 2 shown]
	v_fmamk_f32 v54, v117, 0xbf1a4643, v55
	v_mul_f32_e32 v64, 0xbf06c442, v133
	v_fmac_f32_e32 v136, 0xbf4c4adb, v106
	v_add_f32_e32 v51, v51, v53
	v_add_f32_e32 v48, v48, v52
	;; [unrolled: 1-line block ×3, first 2 shown]
	v_fmamk_f32 v53, v121, 0xbf59a7d5, v64
	v_mul_f32_e32 v54, 0xbe3c28d5, v141
	v_add_f32_e32 v1, v1, v51
	v_add_f32_e32 v48, v50, v48
	;; [unrolled: 1-line block ×4, first 2 shown]
	v_fmamk_f32 v51, v125, 0xbf7ba420, v54
	v_add_f32_e32 v1, v3, v1
	v_add_f32_e32 v0, v0, v48
	;; [unrolled: 1-line block ×3, first 2 shown]
	v_fmamk_f32 v174, v106, 0x3f2c7751, v119
	v_add_f32_e32 v48, v51, v50
	v_fma_f32 v50, 0x3ee437d1, v103, -v144
	v_mul_f32_e32 v123, 0x3ee437d1, v123
	v_add_f32_e32 v0, v2, v0
	v_add_f32_e32 v2, v136, v3
	v_fmac_f32_e32 v142, 0x3e3c28d5, v108
	v_add_f32_e32 v3, v56, v50
	v_fma_f32 v50, 0xbf1a4643, v105, -v147
	v_fmac_f32_e32 v152, 0xbf2c7751, v104
	v_add_f32_e32 v171, v174, v171
	v_fmamk_f32 v174, v108, 0x3f65296c, v123
	v_mul_f32_e32 v127, 0x3dbcf732, v127
	v_add_f32_e32 v2, v142, v2
	v_fmac_f32_e32 v145, 0x3f763a35, v111
	v_add_f32_e32 v3, v50, v3
	v_fma_f32 v50, 0xbf7ba420, v107, -v149
	v_add_f32_e32 v51, v57, v152
	v_fmac_f32_e32 v156, 0xbf7ee86f, v106
	v_add_f32_e32 v163, v174, v171
	v_fmamk_f32 v171, v111, 0x3f7ee86f, v127
	v_mul_f32_e32 v128, 0xbe8c1d8e, v128
	v_add_f32_e32 v2, v145, v2
	v_fmac_f32_e32 v146, 0x3f2c7751, v114
	v_add_f32_e32 v3, v50, v3
	v_fma_f32 v50, 0xbe8c1d8e, v109, -v151
	v_add_f32_e32 v51, v156, v51
	v_fmac_f32_e32 v159, 0xbf4c4adb, v108
	v_add_f32_e32 v163, v171, v163
	v_fmamk_f32 v171, v114, 0x3f763a35, v128
	v_add_f32_e32 v2, v146, v2
	v_fmac_f32_e32 v148, 0xbeb8f4ab, v118
	v_add_f32_e32 v3, v50, v3
	v_fma_f32 v50, 0x3f3d2fb0, v113, -v154
	v_add_f32_e32 v51, v159, v51
	v_fmac_f32_e32 v162, 0xbe3c28d5, v111
	v_add_f32_e32 v163, v171, v163
	v_fmamk_f32 v62, v118, 0x3f4c4adb, v60
	v_mul_f32_e32 v70, 0xbf59a7d5, v137
	v_add_f32_e32 v2, v148, v2
	v_fmac_f32_e32 v150, 0xbf7ee86f, v122
	v_add_f32_e32 v3, v50, v3
	v_fma_f32 v50, 0x3f6eb680, v117, -v153
	v_add_f32_e32 v51, v162, v51
	v_fmac_f32_e32 v158, 0x3f06c442, v114
	v_add_f32_e32 v62, v62, v163
	v_fmamk_f32 v73, v122, 0x3f06c442, v70
	v_mul_f32_e32 v59, 0xbf7ba420, v143
	v_add_f32_e32 v2, v150, v2
	v_fmac_f32_e32 v155, 0xbf06c442, v126
	v_add_f32_e32 v50, v50, v3
	v_fma_f32 v52, 0x3dbcf732, v121, -v157
	v_add_f32_e32 v51, v158, v51
	v_fmac_f32_e32 v165, 0x3f763a35, v118
	v_add_f32_e32 v62, v73, v62
	v_fmamk_f32 v58, v126, 0x3e3c28d5, v59
	v_add_f32_e32 v3, v155, v2
	v_fma_f32 v2, 0x3f3d2fb0, v103, -v160
	v_add_f32_e32 v50, v52, v50
	v_fma_f32 v52, 0xbf59a7d5, v125, -v161
	v_add_f32_e32 v51, v165, v51
	v_fmac_f32_e32 v168, 0x3f65296c, v122
	v_add_f32_e32 v49, v58, v62
	v_add_f32_e32 v53, v56, v2
	v_fma_f32 v58, 0x3dbcf732, v105, -v164
	v_add_f32_e32 v2, v52, v50
	v_fmac_f32_e32 v115, 0xbeb8f4ab, v104
	v_add_f32_e32 v50, v168, v51
	v_fma_f32 v51, 0x3f6eb680, v103, -v69
	v_add_f32_e32 v52, v58, v53
	v_fma_f32 v53, 0xbf1a4643, v107, -v167
	v_add_f32_e32 v57, v57, v115
	v_fmac_f32_e32 v119, 0xbf2c7751, v106
	v_add_f32_e32 v51, v56, v51
	v_fma_f32 v56, 0x3f3d2fb0, v105, -v68
	;; [unrolled: 6-line block ×6, first 2 shown]
	v_add_f32_e32 v52, v53, v52
	v_fmac_f32_e32 v70, 0xbf06c442, v122
	v_add_f32_e32 v53, v60, v57
	v_mov_b32_e32 v57, 3
	v_add_f32_e32 v51, v55, v51
	v_fma_f32 v55, 0xbf59a7d5, v121, -v64
	v_add_f32_e32 v1, v90, v1
	v_add_f32_e32 v0, v89, v0
	v_fmac_f32_e32 v170, 0x3eb8f4ab, v126
	v_fma_f32 v56, 0x3f6eb680, v125, -v61
	v_add_f32_e32 v53, v70, v53
	v_fmac_f32_e32 v59, 0xbe3c28d5, v126
	v_add_f32_e32 v55, v55, v51
	v_fma_f32 v54, 0xbf7ba420, v125, -v54
	v_lshlrev_b32_sdwa v57, v57, v99 dst_sel:DWORD dst_unused:UNUSED_PAD src0_sel:DWORD src1_sel:WORD_0
	v_add_f32_e32 v51, v170, v50
	v_add_f32_e32 v50, v56, v52
	;; [unrolled: 1-line block ×4, first 2 shown]
	ds_write2_b64 v57, v[0:1], v[48:49] offset1:1
	ds_write2_b64 v57, v[131:132], v[138:139] offset0:2 offset1:3
	ds_write2_b64 v57, v[134:135], v[95:96] offset0:4 offset1:5
	;; [unrolled: 1-line block ×7, first 2 shown]
	ds_write_b64 v57, v[52:53] offset:128
.LBB0_17:
	s_or_b32 exec_lo, exec_lo, s1
	v_add_nc_u32_e32 v48, 0xa00, v97
	v_add_nc_u32_e32 v49, 0x1600, v97
	s_waitcnt lgkmcnt(0)
	s_barrier
	buffer_gl0_inv
	ds_read2_b64 v[0:3], v97 offset1:187
	ds_read2_b64 v[52:55], v48 offset0:54 offset1:241
	ds_read2_b64 v[48:51], v49 offset0:44 offset1:231
	ds_read_b64 v[56:57], v97 offset:8976
	s_and_saveexec_b32 s1, s0
	s_cbranch_execz .LBB0_19
; %bb.18:
	v_add_nc_u32_e32 v58, 0x800, v97
	v_add_nc_u32_e32 v59, 0x1400, v97
	;; [unrolled: 1-line block ×3, first 2 shown]
	ds_read_b64 v[91:92], v97 offset:952
	ds_read2_b64 v[84:87], v58 offset0:50 offset1:237
	ds_read2_b64 v[80:83], v59 offset0:40 offset1:227
	;; [unrolled: 1-line block ×3, first 2 shown]
.LBB0_19:
	s_or_b32 exec_lo, exec_lo, s1
	s_waitcnt lgkmcnt(3)
	v_mul_f32_e32 v58, v25, v3
	v_mul_f32_e32 v25, v25, v2
	s_waitcnt lgkmcnt(2)
	v_mul_f32_e32 v59, v27, v53
	v_mul_f32_e32 v27, v27, v52
	s_waitcnt lgkmcnt(0)
	v_fmac_f32_e32 v58, v24, v2
	v_fma_f32 v2, v24, v3, -v25
	v_mul_f32_e32 v3, v21, v55
	v_mul_f32_e32 v21, v21, v54
	v_fmac_f32_e32 v59, v26, v52
	v_fma_f32 v25, v26, v53, -v27
	v_mul_f32_e32 v26, v17, v51
	v_fmac_f32_e32 v3, v20, v54
	v_fma_f32 v20, v20, v55, -v21
	v_mul_f32_e32 v21, v19, v57
	v_mul_f32_e32 v19, v19, v56
	;; [unrolled: 1-line block ×5, first 2 shown]
	v_fmac_f32_e32 v21, v18, v56
	v_fma_f32 v18, v18, v57, -v19
	v_fmac_f32_e32 v26, v16, v50
	v_fma_f32 v16, v16, v51, -v17
	;; [unrolled: 2-line block ×3, first 2 shown]
	v_add_f32_e32 v17, v58, v21
	v_add_f32_e32 v22, v2, v18
	v_sub_f32_e32 v2, v2, v18
	v_add_f32_e32 v18, v59, v26
	v_add_f32_e32 v23, v25, v16
	v_sub_f32_e32 v26, v59, v26
	v_sub_f32_e32 v16, v25, v16
	v_add_f32_e32 v25, v3, v24
	v_add_f32_e32 v27, v20, v19
	v_sub_f32_e32 v3, v24, v3
	;; [unrolled: 4-line block ×3, first 2 shown]
	v_sub_f32_e32 v48, v18, v17
	v_sub_f32_e32 v49, v23, v22
	;; [unrolled: 1-line block ×6, first 2 shown]
	v_add_f32_e32 v50, v3, v26
	v_add_f32_e32 v51, v19, v16
	v_sub_f32_e32 v52, v3, v26
	v_sub_f32_e32 v53, v19, v16
	v_add_f32_e32 v20, v25, v20
	v_add_f32_e32 v24, v27, v24
	v_sub_f32_e32 v26, v26, v21
	v_sub_f32_e32 v16, v16, v2
	;; [unrolled: 1-line block ×4, first 2 shown]
	v_add_f32_e32 v21, v50, v21
	v_add_f32_e32 v2, v51, v2
	;; [unrolled: 1-line block ×4, first 2 shown]
	v_mul_f32_e32 v17, 0x3f4a47b2, v17
	v_mul_f32_e32 v22, 0x3f4a47b2, v22
	;; [unrolled: 1-line block ×8, first 2 shown]
	v_fmamk_f32 v20, v20, 0xbf955555, v0
	v_fmamk_f32 v24, v24, 0xbf955555, v1
	;; [unrolled: 1-line block ×4, first 2 shown]
	v_fma_f32 v25, 0x3f3bfb3b, v48, -v25
	v_fma_f32 v27, 0x3f3bfb3b, v49, -v27
	;; [unrolled: 1-line block ×4, first 2 shown]
	v_fmamk_f32 v48, v3, 0xbeae86e6, v50
	v_fmamk_f32 v49, v19, 0xbeae86e6, v51
	v_fma_f32 v26, 0xbf5ff5aa, v26, -v50
	v_fma_f32 v50, 0xbf5ff5aa, v16, -v51
	;; [unrolled: 1-line block ×4, first 2 shown]
	v_add_f32_e32 v53, v18, v20
	v_add_f32_e32 v54, v23, v24
	v_fmac_f32_e32 v48, 0xbee1c552, v21
	v_fmac_f32_e32 v49, 0xbee1c552, v2
	v_add_f32_e32 v23, v25, v20
	v_add_f32_e32 v25, v27, v24
	;; [unrolled: 1-line block ×4, first 2 shown]
	v_fmac_f32_e32 v26, 0xbee1c552, v21
	v_fmac_f32_e32 v52, 0xbee1c552, v2
	v_fmac_f32_e32 v51, 0xbee1c552, v21
	v_fmac_f32_e32 v50, 0xbee1c552, v2
	v_add_f32_e32 v2, v49, v53
	v_sub_f32_e32 v3, v54, v48
	v_add_f32_e32 v16, v52, v27
	v_sub_f32_e32 v17, v24, v51
	v_sub_f32_e32 v18, v23, v50
	v_add_f32_e32 v19, v26, v25
	v_add_f32_e32 v20, v50, v23
	v_sub_f32_e32 v21, v25, v26
	v_sub_f32_e32 v22, v27, v52
	v_add_f32_e32 v23, v51, v24
	v_sub_f32_e32 v24, v53, v49
	v_add_f32_e32 v25, v48, v54
	s_barrier
	buffer_gl0_inv
	ds_write2_b64 v102, v[0:1], v[2:3] offset1:17
	ds_write2_b64 v102, v[16:17], v[18:19] offset0:34 offset1:51
	ds_write2_b64 v102, v[20:21], v[22:23] offset0:68 offset1:85
	ds_write_b64 v102, v[24:25] offset:816
	s_and_saveexec_b32 s1, s0
	s_cbranch_execz .LBB0_21
; %bb.20:
	v_mul_f32_e32 v0, v7, v83
	v_mul_f32_e32 v2, v5, v81
	;; [unrolled: 1-line block ×10, first 2 shown]
	v_fmac_f32_e32 v0, v6, v82
	v_fmac_f32_e32 v2, v4, v80
	;; [unrolled: 1-line block ×5, first 2 shown]
	v_fma_f32 v14, v14, v79, -v1
	v_mul_f32_e32 v1, v13, v76
	v_mul_f32_e32 v11, v11, v86
	v_fma_f32 v8, v8, v85, -v9
	v_fmac_f32_e32 v18, v12, v76
	v_fma_f32 v4, v4, v81, -v5
	v_fma_f32 v5, v6, v83, -v7
	v_sub_f32_e32 v15, v0, v2
	v_fma_f32 v9, v12, v77, -v1
	v_fma_f32 v10, v10, v87, -v11
	v_add_f32_e32 v6, v14, v8
	v_sub_f32_e32 v11, v17, v18
	v_add_f32_e32 v1, v4, v5
	v_sub_f32_e32 v12, v3, v16
	v_add_f32_e32 v7, v9, v10
	v_add_f32_e32 v16, v16, v3
	v_sub_f32_e32 v19, v15, v11
	v_sub_f32_e32 v20, v6, v1
	;; [unrolled: 1-line block ×3, first 2 shown]
	v_add_f32_e32 v15, v15, v11
	v_sub_f32_e32 v11, v11, v12
	v_add_f32_e32 v13, v7, v6
	v_mul_f32_e32 v19, 0x3f08b237, v19
	v_mul_f32_e32 v20, 0x3f4a47b2, v20
	v_sub_f32_e32 v22, v1, v7
	v_add_f32_e32 v0, v2, v0
	v_add_f32_e32 v2, v18, v17
	v_sub_f32_e32 v4, v5, v4
	v_sub_f32_e32 v5, v10, v9
	;; [unrolled: 1-line block ×3, first 2 shown]
	v_mul_f32_e32 v25, 0xbf5ff5aa, v11
	v_add_f32_e32 v13, v1, v13
	v_fmamk_f32 v23, v21, 0xbeae86e6, v19
	v_add_f32_e32 v15, v15, v12
	v_fmamk_f32 v24, v22, 0x3d64c772, v20
	v_mul_f32_e32 v17, 0x3d64c772, v22
	v_sub_f32_e32 v18, v16, v0
	v_add_f32_e32 v22, v2, v16
	v_sub_f32_e32 v14, v4, v5
	v_sub_f32_e32 v12, v8, v4
	v_add_f32_e32 v4, v4, v5
	v_fma_f32 v21, 0x3eae86e6, v21, -v25
	v_sub_f32_e32 v25, v5, v8
	v_add_f32_e32 v1, v92, v13
	v_sub_f32_e32 v9, v0, v2
	v_mul_f32_e32 v10, 0x3f4a47b2, v18
	v_add_f32_e32 v18, v0, v22
	v_sub_f32_e32 v6, v7, v6
	v_add_f32_e32 v4, v4, v8
	v_mul_f32_e32 v8, 0xbf5ff5aa, v25
	v_fmamk_f32 v13, v13, 0xbf955555, v1
	v_mul_f32_e32 v22, 0x3d64c772, v9
	v_add_f32_e32 v0, v91, v18
	v_mul_f32_e32 v14, 0x3f08b237, v14
	v_fma_f32 v20, 0xbf3bfb3b, v6, -v20
	v_sub_f32_e32 v2, v2, v16
	v_fma_f32 v26, 0x3eae86e6, v12, -v8
	v_fma_f32 v6, 0x3f3bfb3b, v6, -v17
	;; [unrolled: 1-line block ×3, first 2 shown]
	v_fmamk_f32 v9, v9, 0x3d64c772, v10
	v_fmamk_f32 v7, v18, 0xbf955555, v0
	v_fmamk_f32 v18, v12, 0xbeae86e6, v14
	v_fma_f32 v10, 0xbf3bfb3b, v2, -v10
	v_fma_f32 v2, 0x3f3bfb3b, v2, -v22
	v_add_f32_e32 v6, v6, v13
	v_fmac_f32_e32 v8, 0xbee1c552, v15
	v_mov_b32_e32 v11, 0x77
	v_fma_f32 v14, 0xbf5ff5aa, v25, -v14
	v_fmac_f32_e32 v23, 0xbee1c552, v15
	v_add_f32_e32 v24, v24, v13
	v_add_f32_e32 v16, v20, v13
	;; [unrolled: 1-line block ×3, first 2 shown]
	v_fmac_f32_e32 v18, 0xbee1c552, v4
	v_add_f32_e32 v10, v10, v7
	v_add_f32_e32 v2, v2, v7
	v_sub_f32_e32 v7, v6, v8
	v_add_f32_e32 v9, v8, v6
	v_mul_u32_u24_sdwa v6, v100, v11 dst_sel:DWORD dst_unused:UNUSED_PAD src0_sel:WORD_0 src1_sel:DWORD
	v_fmac_f32_e32 v21, 0xbee1c552, v15
	v_fmac_f32_e32 v26, 0xbee1c552, v4
	;; [unrolled: 1-line block ×3, first 2 shown]
	v_sub_f32_e32 v13, v24, v23
	v_add_f32_e32 v12, v18, v20
	v_add_lshl_u32 v15, v6, v101, 3
	v_sub_f32_e32 v4, v10, v26
	v_sub_f32_e32 v8, v2, v14
	;; [unrolled: 1-line block ×3, first 2 shown]
	v_add_f32_e32 v10, v26, v10
	v_add_f32_e32 v5, v21, v16
	;; [unrolled: 1-line block ×4, first 2 shown]
	v_sub_f32_e32 v2, v20, v18
	ds_write2_b64 v15, v[0:1], v[12:13] offset1:17
	ds_write2_b64 v15, v[10:11], v[8:9] offset0:34 offset1:51
	ds_write2_b64 v15, v[6:7], v[4:5] offset0:68 offset1:85
	ds_write_b64 v15, v[2:3] offset:816
.LBB0_21:
	s_or_b32 exec_lo, exec_lo, s1
	s_waitcnt lgkmcnt(0)
	s_barrier
	buffer_gl0_inv
	ds_read2_b64 v[4:7], v97 offset0:119 offset1:238
	v_add_nc_u32_e32 v3, 0x800, v97
	v_add_nc_u32_e32 v2, 0x1000, v97
	ds_read2_b64 v[8:11], v3 offset0:101 offset1:220
	ds_read2_b64 v[12:15], v2 offset0:83 offset1:202
	ds_read_b64 v[24:25], v97
	v_add_nc_u32_e32 v1, 0x1800, v97
	v_add_nc_u32_e32 v0, 0x2000, v97
	ds_read2_b64 v[16:19], v1 offset0:65 offset1:184
	ds_read2_b64 v[20:23], v0 offset0:47 offset1:166
	s_waitcnt lgkmcnt(5)
	v_mul_f32_e32 v26, v45, v5
	v_mul_f32_e32 v27, v45, v4
	v_mul_f32_e32 v45, v47, v7
	v_mul_f32_e32 v47, v47, v6
	v_fmac_f32_e32 v26, v44, v4
	v_fma_f32 v4, v44, v5, -v27
	v_fmac_f32_e32 v45, v46, v6
	v_fma_f32 v6, v46, v7, -v47
	s_waitcnt lgkmcnt(4)
	v_mul_f32_e32 v7, v41, v9
	v_mul_f32_e32 v5, v41, v8
	;; [unrolled: 1-line block ×4, first 2 shown]
	s_waitcnt lgkmcnt(3)
	v_mul_f32_e32 v43, v33, v13
	v_fmac_f32_e32 v7, v40, v8
	v_fma_f32 v8, v40, v9, -v5
	v_fma_f32 v9, v42, v11, -v41
	s_waitcnt lgkmcnt(2)
	v_add_f32_e32 v5, v24, v26
	v_add_f32_e32 v11, v25, v4
	v_mul_f32_e32 v33, v33, v12
	v_fmac_f32_e32 v27, v42, v10
	v_mul_f32_e32 v10, v35, v15
	v_add_f32_e32 v5, v5, v45
	v_add_f32_e32 v11, v11, v6
	v_fmac_f32_e32 v43, v32, v12
	v_fma_f32 v12, v32, v13, -v33
	v_mul_f32_e32 v13, v35, v14
	v_add_f32_e32 v5, v5, v7
	v_add_f32_e32 v11, v11, v8
	v_fmac_f32_e32 v10, v34, v14
	s_waitcnt lgkmcnt(1)
	v_mul_f32_e32 v14, v29, v17
	v_mul_f32_e32 v29, v29, v16
	v_add_f32_e32 v5, v5, v27
	v_add_f32_e32 v11, v11, v9
	v_fma_f32 v13, v34, v15, -v13
	v_fmac_f32_e32 v14, v28, v16
	v_fma_f32 v15, v28, v17, -v29
	v_add_f32_e32 v5, v5, v43
	v_add_f32_e32 v11, v11, v12
	v_mul_f32_e32 v16, v31, v19
	v_mul_f32_e32 v17, v31, v18
	s_waitcnt lgkmcnt(0)
	v_mul_f32_e32 v28, v37, v21
	v_add_f32_e32 v5, v5, v10
	v_add_f32_e32 v11, v11, v13
	v_fmac_f32_e32 v16, v30, v18
	v_fma_f32 v17, v30, v19, -v17
	v_fmac_f32_e32 v28, v36, v20
	v_mul_f32_e32 v18, v39, v22
	v_mul_f32_e32 v20, v37, v20
	v_add_f32_e32 v5, v5, v14
	v_add_f32_e32 v11, v11, v15
	v_mul_f32_e32 v19, v39, v23
	v_fma_f32 v18, v38, v23, -v18
	v_fma_f32 v20, v36, v21, -v20
	v_add_f32_e32 v5, v5, v16
	v_add_f32_e32 v11, v11, v17
	v_fmac_f32_e32 v19, v38, v22
	v_sub_f32_e32 v21, v4, v18
	v_add_f32_e32 v23, v4, v18
	v_add_f32_e32 v4, v5, v28
	;; [unrolled: 1-line block ×4, first 2 shown]
	v_mul_f32_e32 v29, 0xbf0a6770, v21
	v_sub_f32_e32 v11, v26, v19
	v_mul_f32_e32 v26, 0x3f575c64, v23
	v_add_f32_e32 v5, v5, v18
	v_mul_f32_e32 v18, 0xbf68dda4, v21
	v_mul_f32_e32 v32, 0x3ed4b147, v23
	;; [unrolled: 1-line block ×8, first 2 shown]
	v_sub_f32_e32 v44, v6, v20
	v_fmamk_f32 v30, v22, 0x3f575c64, v29
	v_fma_f32 v29, 0x3f575c64, v22, -v29
	v_fmamk_f32 v31, v22, 0x3ed4b147, v18
	v_fma_f32 v18, 0x3ed4b147, v22, -v18
	;; [unrolled: 2-line block ×4, first 2 shown]
	v_fmamk_f32 v42, v22, 0xbf75a155, v21
	v_fmamk_f32 v46, v11, 0x3e903f40, v23
	v_fma_f32 v21, 0xbf75a155, v22, -v21
	v_add_f32_e32 v6, v6, v20
	v_add_f32_e32 v20, v45, v28
	v_mul_f32_e32 v22, 0xbf68dda4, v44
	v_add_f32_e32 v4, v4, v19
	v_fmamk_f32 v19, v11, 0x3f0a6770, v26
	v_add_f32_e32 v30, v24, v30
	v_fmac_f32_e32 v26, 0xbf0a6770, v11
	v_fmamk_f32 v34, v11, 0x3f68dda4, v32
	v_fmac_f32_e32 v32, 0xbf68dda4, v11
	v_fmamk_f32 v37, v11, 0x3f7d64f0, v35
	;; [unrolled: 2-line block ×3, first 2 shown]
	v_fmac_f32_e32 v39, 0xbf4178ce, v11
	v_fmac_f32_e32 v23, 0xbe903f40, v11
	v_sub_f32_e32 v11, v45, v28
	v_mul_f32_e32 v28, 0x3ed4b147, v6
	v_add_f32_e32 v45, v25, v46
	v_fmamk_f32 v46, v20, 0x3ed4b147, v22
	v_add_f32_e32 v19, v25, v19
	v_add_f32_e32 v29, v24, v29
	;; [unrolled: 1-line block ×18, first 2 shown]
	v_fmamk_f32 v24, v11, 0x3f68dda4, v28
	v_mul_f32_e32 v25, 0xbf4178ce, v44
	v_add_f32_e32 v30, v46, v30
	v_fma_f32 v22, 0x3ed4b147, v20, -v22
	v_fmac_f32_e32 v28, 0xbf68dda4, v11
	v_mul_f32_e32 v46, 0xbf27a4f4, v6
	v_add_f32_e32 v19, v24, v19
	v_fmamk_f32 v24, v20, 0xbf27a4f4, v25
	v_add_f32_e32 v22, v22, v29
	v_add_f32_e32 v26, v28, v26
	v_mul_f32_e32 v28, 0x3e903f40, v44
	v_fmamk_f32 v29, v11, 0x3f4178ce, v46
	v_fma_f32 v25, 0xbf27a4f4, v20, -v25
	v_fmac_f32_e32 v46, 0xbf4178ce, v11
	v_mul_f32_e32 v47, 0xbf75a155, v6
	v_add_f32_e32 v24, v24, v31
	v_fmamk_f32 v31, v20, 0xbf75a155, v28
	v_add_f32_e32 v29, v29, v34
	v_add_f32_e32 v18, v25, v18
	;; [unrolled: 1-line block ×3, first 2 shown]
	v_fmamk_f32 v32, v11, 0xbe903f40, v47
	v_mul_f32_e32 v34, 0x3f7d64f0, v44
	v_add_f32_e32 v31, v31, v36
	v_fma_f32 v28, 0xbf75a155, v20, -v28
	v_mul_f32_e32 v36, 0xbe11bafb, v6
	v_add_f32_e32 v32, v32, v37
	v_fmamk_f32 v37, v20, 0xbe11bafb, v34
	v_mul_f32_e32 v44, 0x3f0a6770, v44
	v_fma_f32 v34, 0xbe11bafb, v20, -v34
	v_add_f32_e32 v28, v28, v33
	v_fmamk_f32 v33, v11, 0xbf7d64f0, v36
	v_add_f32_e32 v37, v37, v40
	v_fmac_f32_e32 v36, 0x3f7d64f0, v11
	v_fmamk_f32 v40, v20, 0x3f575c64, v44
	v_add_f32_e32 v34, v34, v38
	v_sub_f32_e32 v38, v8, v17
	v_add_f32_e32 v33, v33, v41
	v_mul_f32_e32 v6, 0x3f575c64, v6
	v_add_f32_e32 v36, v36, v39
	v_add_f32_e32 v39, v40, v42
	;; [unrolled: 1-line block ×3, first 2 shown]
	v_mul_f32_e32 v42, 0xbf7d64f0, v38
	v_add_f32_e32 v8, v8, v17
	v_fmac_f32_e32 v47, 0x3e903f40, v11
	v_fmamk_f32 v40, v11, 0xbf0a6770, v6
	v_fma_f32 v17, 0x3f575c64, v20, -v44
	v_fmac_f32_e32 v6, 0x3f0a6770, v11
	v_sub_f32_e32 v7, v7, v16
	v_fmamk_f32 v11, v41, 0xbe11bafb, v42
	v_mul_f32_e32 v16, 0xbe11bafb, v8
	v_add_f32_e32 v20, v40, v45
	v_add_f32_e32 v17, v17, v21
	;; [unrolled: 1-line block ×4, first 2 shown]
	v_fmamk_f32 v21, v7, 0x3f7d64f0, v16
	v_mul_f32_e32 v23, 0x3e903f40, v38
	v_fma_f32 v30, 0xbe11bafb, v41, -v42
	v_fmac_f32_e32 v16, 0xbf7d64f0, v7
	v_mul_f32_e32 v40, 0xbf75a155, v8
	v_add_f32_e32 v19, v21, v19
	v_fmamk_f32 v21, v41, 0xbf75a155, v23
	v_add_f32_e32 v22, v30, v22
	v_add_f32_e32 v16, v16, v26
	v_fmamk_f32 v26, v7, 0xbe903f40, v40
	v_mul_f32_e32 v30, 0x3f68dda4, v38
	v_add_f32_e32 v21, v21, v24
	v_fma_f32 v23, 0xbf75a155, v41, -v23
	v_fmac_f32_e32 v40, 0x3e903f40, v7
	v_add_f32_e32 v24, v26, v29
	v_fmamk_f32 v26, v41, 0x3ed4b147, v30
	v_mul_f32_e32 v29, 0x3ed4b147, v8
	v_add_f32_e32 v18, v23, v18
	v_add_f32_e32 v23, v40, v25
	v_mul_f32_e32 v25, 0xbf0a6770, v38
	v_add_f32_e32 v26, v26, v31
	v_fmamk_f32 v31, v7, 0xbf68dda4, v29
	v_mul_f32_e32 v42, 0x3f575c64, v8
	v_fma_f32 v30, 0x3ed4b147, v41, -v30
	v_fmamk_f32 v40, v41, 0x3f575c64, v25
	v_mul_f32_e32 v8, 0xbf27a4f4, v8
	v_add_f32_e32 v31, v31, v32
	v_fmamk_f32 v32, v7, 0x3f0a6770, v42
	v_fma_f32 v25, 0x3f575c64, v41, -v25
	v_fmac_f32_e32 v42, 0xbf0a6770, v7
	v_add_f32_e32 v35, v47, v35
	v_fmac_f32_e32 v29, 0x3f68dda4, v7
	v_add_f32_e32 v28, v30, v28
	v_add_f32_e32 v30, v40, v37
	v_fmamk_f32 v37, v7, 0x3f4178ce, v8
	v_add_f32_e32 v25, v25, v34
	v_add_f32_e32 v34, v42, v36
	v_sub_f32_e32 v36, v9, v15
	v_add_f32_e32 v29, v29, v35
	v_mul_f32_e32 v35, 0xbf4178ce, v38
	v_add_f32_e32 v20, v37, v20
	v_add_f32_e32 v37, v27, v14
	;; [unrolled: 1-line block ×3, first 2 shown]
	v_mul_f32_e32 v15, 0xbf4178ce, v36
	v_fmac_f32_e32 v8, 0xbf4178ce, v7
	v_add_f32_e32 v32, v32, v33
	v_fmamk_f32 v33, v41, 0xbf27a4f4, v35
	v_fma_f32 v35, 0xbf27a4f4, v41, -v35
	v_sub_f32_e32 v7, v27, v14
	v_mul_f32_e32 v14, 0xbf27a4f4, v9
	v_fmamk_f32 v27, v37, 0xbf27a4f4, v15
	v_add_f32_e32 v6, v8, v6
	v_mul_f32_e32 v8, 0x3f7d64f0, v36
	v_add_f32_e32 v17, v35, v17
	v_fmamk_f32 v35, v7, 0x3f4178ce, v14
	v_add_f32_e32 v11, v27, v11
	v_fmac_f32_e32 v14, 0xbf4178ce, v7
	v_fmamk_f32 v27, v37, 0xbe11bafb, v8
	v_fma_f32 v15, 0xbf27a4f4, v37, -v15
	v_add_f32_e32 v19, v35, v19
	v_mul_f32_e32 v35, 0xbe11bafb, v9
	v_add_f32_e32 v14, v14, v16
	v_add_f32_e32 v16, v27, v21
	v_mul_f32_e32 v21, 0xbf0a6770, v36
	v_add_f32_e32 v15, v15, v22
	v_fmamk_f32 v22, v7, 0xbf7d64f0, v35
	v_fma_f32 v8, 0xbe11bafb, v37, -v8
	v_mul_f32_e32 v27, 0x3f575c64, v9
	v_fmamk_f32 v38, v37, 0x3f575c64, v21
	v_fmac_f32_e32 v35, 0x3f7d64f0, v7
	v_add_f32_e32 v22, v22, v24
	v_add_f32_e32 v18, v8, v18
	v_fmamk_f32 v8, v7, 0x3f0a6770, v27
	v_add_f32_e32 v24, v38, v26
	v_mul_f32_e32 v26, 0xbe903f40, v36
	v_fma_f32 v21, 0x3f575c64, v37, -v21
	v_add_f32_e32 v23, v35, v23
	v_fmac_f32_e32 v27, 0xbf0a6770, v7
	v_add_f32_e32 v31, v8, v31
	v_mul_f32_e32 v8, 0xbf75a155, v9
	v_fmamk_f32 v35, v37, 0xbf75a155, v26
	v_add_f32_e32 v21, v21, v28
	v_mul_f32_e32 v28, 0x3f68dda4, v36
	v_add_f32_e32 v33, v33, v39
	v_add_f32_e32 v27, v27, v29
	v_fmamk_f32 v29, v7, 0x3e903f40, v8
	v_add_f32_e32 v30, v35, v30
	v_fma_f32 v26, 0xbf75a155, v37, -v26
	v_fmac_f32_e32 v8, 0xbe903f40, v7
	v_fmamk_f32 v35, v37, 0x3ed4b147, v28
	v_add_f32_e32 v29, v29, v32
	v_mul_f32_e32 v9, 0x3ed4b147, v9
	v_add_f32_e32 v25, v26, v25
	v_add_f32_e32 v26, v8, v34
	;; [unrolled: 1-line block ×3, first 2 shown]
	v_sub_f32_e32 v33, v12, v13
	v_add_f32_e32 v34, v12, v13
	v_fmamk_f32 v8, v7, 0xbf68dda4, v9
	v_fma_f32 v28, 0x3ed4b147, v37, -v28
	v_add_f32_e32 v35, v43, v10
	v_mul_f32_e32 v12, 0xbe903f40, v33
	v_sub_f32_e32 v36, v43, v10
	v_mul_f32_e32 v10, 0xbf75a155, v34
	v_fmac_f32_e32 v9, 0x3f68dda4, v7
	v_add_f32_e32 v37, v8, v20
	v_fmamk_f32 v7, v35, 0xbf75a155, v12
	v_add_f32_e32 v28, v28, v17
	v_fmamk_f32 v8, v36, 0x3e903f40, v10
	v_mul_f32_e32 v13, 0x3f0a6770, v33
	v_mul_f32_e32 v17, 0x3f575c64, v34
	v_add_f32_e32 v6, v9, v6
	v_add_f32_e32 v7, v7, v11
	v_fma_f32 v9, 0xbf75a155, v35, -v12
	v_fmac_f32_e32 v10, 0xbe903f40, v36
	v_add_f32_e32 v8, v8, v19
	v_fmamk_f32 v11, v35, 0x3f575c64, v13
	v_mul_f32_e32 v19, 0xbf4178ce, v33
	v_fmamk_f32 v12, v36, 0xbf0a6770, v17
	v_fmac_f32_e32 v17, 0x3f0a6770, v36
	v_mul_f32_e32 v20, 0xbf27a4f4, v34
	v_add_f32_e32 v10, v10, v14
	v_add_f32_e32 v11, v11, v16
	v_fma_f32 v13, 0x3f575c64, v35, -v13
	v_add_f32_e32 v12, v12, v22
	v_add_f32_e32 v14, v17, v23
	v_fmamk_f32 v16, v36, 0x3f4178ce, v20
	v_mul_f32_e32 v22, 0x3f68dda4, v33
	v_fma_f32 v17, 0xbf27a4f4, v35, -v19
	v_fmac_f32_e32 v20, 0xbf4178ce, v36
	v_mul_f32_e32 v23, 0x3ed4b147, v34
	v_add_f32_e32 v13, v13, v18
	v_add_f32_e32 v9, v9, v15
	;; [unrolled: 1-line block ×4, first 2 shown]
	v_fma_f32 v21, 0x3ed4b147, v35, -v22
	v_mul_f32_e32 v27, 0xbe11bafb, v34
	v_fmamk_f32 v15, v35, 0xbf27a4f4, v19
	v_fmamk_f32 v19, v35, 0x3ed4b147, v22
	v_mul_f32_e32 v22, 0xbf7d64f0, v33
	v_fmamk_f32 v20, v36, 0xbf68dda4, v23
	v_add_f32_e32 v21, v21, v25
	v_fmac_f32_e32 v23, 0x3f68dda4, v36
	v_fmamk_f32 v25, v36, 0x3f7d64f0, v27
	v_fmac_f32_e32 v27, 0xbf7d64f0, v36
	v_add_f32_e32 v15, v15, v24
	v_fmamk_f32 v24, v35, 0xbe11bafb, v22
	v_add_f32_e32 v20, v20, v29
	v_fma_f32 v29, 0xbe11bafb, v35, -v22
	v_add_f32_e32 v22, v23, v26
	v_add_f32_e32 v26, v27, v6
	ds_write_b64 v97, v[4:5]
	v_add_nc_u32_e32 v6, 0x400, v97
	v_add_nc_u32_e32 v5, 0x1400, v97
	;; [unrolled: 1-line block ×3, first 2 shown]
	v_add_f32_e32 v16, v16, v31
	v_add_f32_e32 v19, v19, v30
	;; [unrolled: 1-line block ×4, first 2 shown]
	v_add_nc_u32_e32 v27, 0xc00, v97
	v_add_f32_e32 v25, v29, v28
	ds_write_b64 v97, v[7:8] offset:952
	ds_write2_b64 v6, v[11:12], v[15:16] offset0:110 offset1:229
	ds_write2_b64 v27, v[19:20], v[23:24] offset0:92 offset1:211
	;; [unrolled: 1-line block ×4, first 2 shown]
	ds_write_b64 v97, v[9:10] offset:9520
	s_waitcnt lgkmcnt(0)
	s_barrier
	buffer_gl0_inv
	s_and_b32 exec_lo, exec_lo, vcc_lo
	s_cbranch_execz .LBB0_23
; %bb.22:
	global_load_dwordx2 v[7:8], v97, s[12:13]
	ds_read_b64 v[9:10], v97
	s_mov_b32 s0, 0xd336f476
	s_mov_b32 s1, 0x3f490868
	v_mad_u64_u32 v[13:14], null, s4, v98, 0
	s_mul_i32 s2, s5, 0x268
	s_mul_i32 s3, s4, 0x268
	s_waitcnt vmcnt(0) lgkmcnt(0)
	v_mul_f32_e32 v11, v10, v8
	v_mul_f32_e32 v8, v9, v8
	v_fmac_f32_e32 v11, v9, v7
	v_fma_f32 v9, v7, v10, -v8
	v_cvt_f64_f32_e32 v[7:8], v11
	v_cvt_f64_f32_e32 v[9:10], v9
	v_mad_u64_u32 v[11:12], null, s6, v88, 0
	v_mad_u64_u32 v[15:16], null, s7, v88, v[12:13]
	;; [unrolled: 1-line block ×3, first 2 shown]
	v_mov_b32_e32 v12, v15
	s_mul_hi_u32 s5, s4, 0x268
	v_mul_f64 v[7:8], v[7:8], s[0:1]
	v_mul_f64 v[9:10], v[9:10], s[0:1]
	s_add_i32 s2, s5, s2
	v_mov_b32_e32 v14, v16
	v_add_co_u32 v16, s4, s12, v97
	v_add_co_ci_u32_e64 v17, null, s13, 0, s4
	v_cvt_f32_f64_e32 v7, v[7:8]
	v_cvt_f32_f64_e32 v8, v[9:10]
	v_lshlrev_b64 v[9:10], 3, v[11:12]
	v_lshlrev_b64 v[11:12], 3, v[13:14]
	v_add_co_u32 v9, vcc_lo, s14, v9
	v_add_co_ci_u32_e32 v10, vcc_lo, s15, v10, vcc_lo
	v_add_co_u32 v11, vcc_lo, v9, v11
	v_add_co_ci_u32_e32 v12, vcc_lo, v10, v12, vcc_lo
	global_store_dwordx2 v[11:12], v[7:8], off
	global_load_dwordx2 v[13:14], v97, s[12:13] offset:616
	ds_read2_b64 v[7:10], v97 offset0:77 offset1:154
	v_add_co_u32 v11, vcc_lo, v11, s3
	v_add_co_ci_u32_e32 v12, vcc_lo, s2, v12, vcc_lo
	s_waitcnt vmcnt(0) lgkmcnt(0)
	v_mul_f32_e32 v15, v8, v14
	v_mul_f32_e32 v14, v7, v14
	v_fmac_f32_e32 v15, v7, v13
	v_fma_f32 v13, v13, v8, -v14
	v_cvt_f64_f32_e32 v[7:8], v15
	v_cvt_f64_f32_e32 v[13:14], v13
	v_mul_f64 v[7:8], v[7:8], s[0:1]
	v_mul_f64 v[13:14], v[13:14], s[0:1]
	v_cvt_f32_f64_e32 v7, v[7:8]
	v_cvt_f32_f64_e32 v8, v[13:14]
	global_store_dwordx2 v[11:12], v[7:8], off
	global_load_dwordx2 v[7:8], v97, s[12:13] offset:1232
	s_waitcnt vmcnt(0)
	v_mul_f32_e32 v13, v10, v8
	v_mul_f32_e32 v8, v9, v8
	v_fmac_f32_e32 v13, v9, v7
	v_fma_f32 v9, v7, v10, -v8
	v_cvt_f64_f32_e32 v[7:8], v13
	v_cvt_f64_f32_e32 v[9:10], v9
	v_mul_f64 v[7:8], v[7:8], s[0:1]
	v_mul_f64 v[9:10], v[9:10], s[0:1]
	v_cvt_f32_f64_e32 v7, v[7:8]
	v_cvt_f32_f64_e32 v8, v[9:10]
	v_add_co_u32 v10, vcc_lo, v11, s3
	v_add_co_ci_u32_e32 v11, vcc_lo, s2, v12, vcc_lo
	global_store_dwordx2 v[10:11], v[7:8], off
	global_load_dwordx2 v[12:13], v97, s[12:13] offset:1848
	ds_read2_b64 v[6:9], v6 offset0:103 offset1:180
	v_add_co_u32 v10, vcc_lo, v10, s3
	v_add_co_ci_u32_e32 v11, vcc_lo, s2, v11, vcc_lo
	s_waitcnt vmcnt(0) lgkmcnt(0)
	v_mul_f32_e32 v14, v7, v13
	v_mul_f32_e32 v13, v6, v13
	v_fmac_f32_e32 v14, v6, v12
	v_fma_f32 v12, v12, v7, -v13
	v_cvt_f64_f32_e32 v[6:7], v14
	v_cvt_f64_f32_e32 v[12:13], v12
	v_mul_f64 v[6:7], v[6:7], s[0:1]
	v_mul_f64 v[12:13], v[12:13], s[0:1]
	v_cvt_f32_f64_e32 v6, v[6:7]
	v_cvt_f32_f64_e32 v7, v[12:13]
	v_add_co_u32 v12, vcc_lo, 0x800, v16
	v_add_co_ci_u32_e32 v13, vcc_lo, 0, v17, vcc_lo
	global_store_dwordx2 v[10:11], v[6:7], off
	global_load_dwordx2 v[6:7], v[12:13], off offset:416
	v_add_co_u32 v10, vcc_lo, v10, s3
	v_add_co_ci_u32_e32 v11, vcc_lo, s2, v11, vcc_lo
	s_waitcnt vmcnt(0)
	v_mul_f32_e32 v14, v9, v7
	v_mul_f32_e32 v7, v8, v7
	v_fmac_f32_e32 v14, v8, v6
	v_fma_f32 v8, v6, v9, -v7
	v_cvt_f64_f32_e32 v[6:7], v14
	v_cvt_f64_f32_e32 v[8:9], v8
	v_mul_f64 v[6:7], v[6:7], s[0:1]
	v_mul_f64 v[8:9], v[8:9], s[0:1]
	v_cvt_f32_f64_e32 v6, v[6:7]
	v_cvt_f32_f64_e32 v7, v[8:9]
	global_store_dwordx2 v[10:11], v[6:7], off
	global_load_dwordx2 v[14:15], v[12:13], off offset:1032
	ds_read2_b64 v[6:9], v3 offset0:129 offset1:206
	v_add_co_u32 v10, vcc_lo, v10, s3
	v_add_co_ci_u32_e32 v11, vcc_lo, s2, v11, vcc_lo
	s_waitcnt vmcnt(0) lgkmcnt(0)
	v_mul_f32_e32 v3, v7, v15
	v_mul_f32_e32 v15, v6, v15
	v_fmac_f32_e32 v3, v6, v14
	v_fma_f32 v14, v14, v7, -v15
	v_cvt_f64_f32_e32 v[6:7], v3
	v_cvt_f64_f32_e32 v[14:15], v14
	v_mul_f64 v[6:7], v[6:7], s[0:1]
	v_mul_f64 v[14:15], v[14:15], s[0:1]
	v_cvt_f32_f64_e32 v6, v[6:7]
	v_cvt_f32_f64_e32 v7, v[14:15]
	global_store_dwordx2 v[10:11], v[6:7], off
	global_load_dwordx2 v[6:7], v[12:13], off offset:1648
	v_add_co_u32 v10, vcc_lo, v10, s3
	v_add_co_ci_u32_e32 v11, vcc_lo, s2, v11, vcc_lo
	v_add_co_u32 v12, vcc_lo, 0x1000, v16
	v_add_co_ci_u32_e32 v13, vcc_lo, 0, v17, vcc_lo
	s_waitcnt vmcnt(0)
	v_mul_f32_e32 v3, v9, v7
	v_mul_f32_e32 v7, v8, v7
	v_fmac_f32_e32 v3, v8, v6
	v_fma_f32 v8, v6, v9, -v7
	v_cvt_f64_f32_e32 v[6:7], v3
	v_cvt_f64_f32_e32 v[8:9], v8
	v_mul_f64 v[6:7], v[6:7], s[0:1]
	v_mul_f64 v[8:9], v[8:9], s[0:1]
	v_cvt_f32_f64_e32 v6, v[6:7]
	v_cvt_f32_f64_e32 v7, v[8:9]
	global_store_dwordx2 v[10:11], v[6:7], off
	global_load_dwordx2 v[14:15], v[12:13], off offset:216
	ds_read2_b64 v[6:9], v2 offset0:27 offset1:104
	s_waitcnt vmcnt(0) lgkmcnt(0)
	v_mul_f32_e32 v2, v7, v15
	v_mul_f32_e32 v3, v6, v15
	v_fmac_f32_e32 v2, v6, v14
	v_fma_f32 v6, v14, v7, -v3
	v_cvt_f64_f32_e32 v[2:3], v2
	v_cvt_f64_f32_e32 v[6:7], v6
	v_mul_f64 v[2:3], v[2:3], s[0:1]
	v_mul_f64 v[6:7], v[6:7], s[0:1]
	v_cvt_f32_f64_e32 v2, v[2:3]
	v_cvt_f32_f64_e32 v3, v[6:7]
	v_add_co_u32 v6, vcc_lo, v10, s3
	v_add_co_ci_u32_e32 v7, vcc_lo, s2, v11, vcc_lo
	global_store_dwordx2 v[6:7], v[2:3], off
	global_load_dwordx2 v[2:3], v[12:13], off offset:832
	s_waitcnt vmcnt(0)
	v_mul_f32_e32 v10, v9, v3
	v_mul_f32_e32 v3, v8, v3
	v_fmac_f32_e32 v10, v8, v2
	v_fma_f32 v8, v2, v9, -v3
	v_cvt_f64_f32_e32 v[2:3], v10
	v_cvt_f64_f32_e32 v[8:9], v8
	v_mul_f64 v[2:3], v[2:3], s[0:1]
	v_mul_f64 v[8:9], v[8:9], s[0:1]
	v_cvt_f32_f64_e32 v2, v[2:3]
	v_cvt_f32_f64_e32 v3, v[8:9]
	v_add_co_u32 v9, vcc_lo, v6, s3
	v_add_co_ci_u32_e32 v10, vcc_lo, s2, v7, vcc_lo
	ds_read2_b64 v[5:8], v5 offset0:53 offset1:130
	global_store_dwordx2 v[9:10], v[2:3], off
	global_load_dwordx2 v[2:3], v[12:13], off offset:1448
	s_waitcnt vmcnt(0) lgkmcnt(0)
	v_mul_f32_e32 v11, v6, v3
	v_mul_f32_e32 v3, v5, v3
	v_fmac_f32_e32 v11, v5, v2
	v_fma_f32 v5, v2, v6, -v3
	v_cvt_f64_f32_e32 v[2:3], v11
	v_cvt_f64_f32_e32 v[5:6], v5
	v_mul_f64 v[2:3], v[2:3], s[0:1]
	v_mul_f64 v[5:6], v[5:6], s[0:1]
	v_cvt_f32_f64_e32 v2, v[2:3]
	v_cvt_f32_f64_e32 v3, v[5:6]
	v_add_co_u32 v5, vcc_lo, v9, s3
	v_add_co_ci_u32_e32 v6, vcc_lo, s2, v10, vcc_lo
	v_add_co_u32 v9, vcc_lo, 0x1800, v16
	v_add_co_ci_u32_e32 v10, vcc_lo, 0, v17, vcc_lo
	global_store_dwordx2 v[5:6], v[2:3], off
	global_load_dwordx2 v[2:3], v[9:10], off offset:16
	s_waitcnt vmcnt(0)
	v_mul_f32_e32 v11, v8, v3
	v_mul_f32_e32 v3, v7, v3
	v_fmac_f32_e32 v11, v7, v2
	v_fma_f32 v7, v2, v8, -v3
	v_cvt_f64_f32_e32 v[2:3], v11
	v_cvt_f64_f32_e32 v[7:8], v7
	v_add_co_u32 v11, vcc_lo, v5, s3
	v_add_co_ci_u32_e32 v12, vcc_lo, s2, v6, vcc_lo
	v_mul_f64 v[2:3], v[2:3], s[0:1]
	v_mul_f64 v[7:8], v[7:8], s[0:1]
	v_cvt_f32_f64_e32 v2, v[2:3]
	v_cvt_f32_f64_e32 v3, v[7:8]
	ds_read2_b64 v[5:8], v1 offset0:79 offset1:156
	global_store_dwordx2 v[11:12], v[2:3], off
	global_load_dwordx2 v[2:3], v[9:10], off offset:632
	s_waitcnt vmcnt(0) lgkmcnt(0)
	v_mul_f32_e32 v1, v6, v3
	v_mul_f32_e32 v3, v5, v3
	v_fmac_f32_e32 v1, v5, v2
	v_fma_f32 v3, v2, v6, -v3
	v_cvt_f64_f32_e32 v[1:2], v1
	v_cvt_f64_f32_e32 v[5:6], v3
	v_mul_f64 v[1:2], v[1:2], s[0:1]
	v_mul_f64 v[5:6], v[5:6], s[0:1]
	v_cvt_f32_f64_e32 v1, v[1:2]
	v_cvt_f32_f64_e32 v2, v[5:6]
	v_add_co_u32 v5, vcc_lo, v11, s3
	v_add_co_ci_u32_e32 v6, vcc_lo, s2, v12, vcc_lo
	global_store_dwordx2 v[5:6], v[1:2], off
	global_load_dwordx2 v[1:2], v[9:10], off offset:1248
	v_add_co_u32 v5, vcc_lo, v5, s3
	v_add_co_ci_u32_e32 v6, vcc_lo, s2, v6, vcc_lo
	s_waitcnt vmcnt(0)
	v_mul_f32_e32 v3, v8, v2
	v_mul_f32_e32 v2, v7, v2
	v_fmac_f32_e32 v3, v7, v1
	v_fma_f32 v7, v1, v8, -v2
	v_cvt_f64_f32_e32 v[1:2], v3
	v_cvt_f64_f32_e32 v[7:8], v7
	v_mul_f64 v[1:2], v[1:2], s[0:1]
	v_mul_f64 v[7:8], v[7:8], s[0:1]
	v_cvt_f32_f64_e32 v1, v[1:2]
	v_cvt_f32_f64_e32 v2, v[7:8]
	global_store_dwordx2 v[5:6], v[1:2], off
	global_load_dwordx2 v[7:8], v[9:10], off offset:1864
	ds_read2_b64 v[1:4], v4 offset0:105 offset1:182
	v_add_co_u32 v5, vcc_lo, v5, s3
	v_add_co_ci_u32_e32 v6, vcc_lo, s2, v6, vcc_lo
	s_waitcnt vmcnt(0) lgkmcnt(0)
	v_mul_f32_e32 v9, v2, v8
	v_mul_f32_e32 v8, v1, v8
	v_fmac_f32_e32 v9, v1, v7
	v_fma_f32 v7, v7, v2, -v8
	v_cvt_f64_f32_e32 v[1:2], v9
	v_cvt_f64_f32_e32 v[7:8], v7
	v_mul_f64 v[1:2], v[1:2], s[0:1]
	v_mul_f64 v[7:8], v[7:8], s[0:1]
	v_cvt_f32_f64_e32 v1, v[1:2]
	v_cvt_f32_f64_e32 v2, v[7:8]
	v_add_co_u32 v7, vcc_lo, 0x2000, v16
	v_add_co_ci_u32_e32 v8, vcc_lo, 0, v17, vcc_lo
	global_store_dwordx2 v[5:6], v[1:2], off
	global_load_dwordx2 v[1:2], v[7:8], off offset:432
	s_waitcnt vmcnt(0)
	v_mul_f32_e32 v9, v4, v2
	v_mul_f32_e32 v2, v3, v2
	v_fmac_f32_e32 v9, v3, v1
	v_fma_f32 v3, v1, v4, -v2
	v_cvt_f64_f32_e32 v[1:2], v9
	v_cvt_f64_f32_e32 v[3:4], v3
	v_mul_f64 v[1:2], v[1:2], s[0:1]
	v_mul_f64 v[3:4], v[3:4], s[0:1]
	v_cvt_f32_f64_e32 v1, v[1:2]
	v_cvt_f32_f64_e32 v2, v[3:4]
	v_add_co_u32 v4, vcc_lo, v5, s3
	v_add_co_ci_u32_e32 v5, vcc_lo, s2, v6, vcc_lo
	global_store_dwordx2 v[4:5], v[1:2], off
	global_load_dwordx2 v[9:10], v[7:8], off offset:1048
	ds_read2_b64 v[0:3], v0 offset0:131 offset1:208
	v_add_co_u32 v4, vcc_lo, v4, s3
	v_add_co_ci_u32_e32 v5, vcc_lo, s2, v5, vcc_lo
	s_waitcnt vmcnt(0) lgkmcnt(0)
	v_mul_f32_e32 v6, v1, v10
	v_mul_f32_e32 v10, v0, v10
	v_fmac_f32_e32 v6, v0, v9
	v_fma_f32 v9, v9, v1, -v10
	v_cvt_f64_f32_e32 v[0:1], v6
	v_cvt_f64_f32_e32 v[9:10], v9
	v_mul_f64 v[0:1], v[0:1], s[0:1]
	v_mul_f64 v[9:10], v[9:10], s[0:1]
	v_cvt_f32_f64_e32 v0, v[0:1]
	v_cvt_f32_f64_e32 v1, v[9:10]
	global_store_dwordx2 v[4:5], v[0:1], off
	global_load_dwordx2 v[0:1], v[7:8], off offset:1664
	s_waitcnt vmcnt(0)
	v_mul_f32_e32 v6, v3, v1
	v_mul_f32_e32 v1, v2, v1
	v_fmac_f32_e32 v6, v2, v0
	v_fma_f32 v2, v0, v3, -v1
	v_cvt_f64_f32_e32 v[0:1], v6
	v_cvt_f64_f32_e32 v[2:3], v2
	v_mul_f64 v[0:1], v[0:1], s[0:1]
	v_mul_f64 v[2:3], v[2:3], s[0:1]
	v_cvt_f32_f64_e32 v0, v[0:1]
	v_cvt_f32_f64_e32 v1, v[2:3]
	v_add_co_u32 v2, vcc_lo, v4, s3
	v_add_co_ci_u32_e32 v3, vcc_lo, s2, v5, vcc_lo
	global_store_dwordx2 v[2:3], v[0:1], off
.LBB0_23:
	s_endpgm
	.section	.rodata,"a",@progbits
	.p2align	6, 0x0
	.amdhsa_kernel bluestein_single_back_len1309_dim1_sp_op_CI_CI
		.amdhsa_group_segment_fixed_size 10472
		.amdhsa_private_segment_fixed_size 0
		.amdhsa_kernarg_size 104
		.amdhsa_user_sgpr_count 6
		.amdhsa_user_sgpr_private_segment_buffer 1
		.amdhsa_user_sgpr_dispatch_ptr 0
		.amdhsa_user_sgpr_queue_ptr 0
		.amdhsa_user_sgpr_kernarg_segment_ptr 1
		.amdhsa_user_sgpr_dispatch_id 0
		.amdhsa_user_sgpr_flat_scratch_init 0
		.amdhsa_user_sgpr_private_segment_size 0
		.amdhsa_wavefront_size32 1
		.amdhsa_uses_dynamic_stack 0
		.amdhsa_system_sgpr_private_segment_wavefront_offset 0
		.amdhsa_system_sgpr_workgroup_id_x 1
		.amdhsa_system_sgpr_workgroup_id_y 0
		.amdhsa_system_sgpr_workgroup_id_z 0
		.amdhsa_system_sgpr_workgroup_info 0
		.amdhsa_system_vgpr_workitem_id 0
		.amdhsa_next_free_vgpr 240
		.amdhsa_next_free_sgpr 16
		.amdhsa_reserve_vcc 1
		.amdhsa_reserve_flat_scratch 0
		.amdhsa_float_round_mode_32 0
		.amdhsa_float_round_mode_16_64 0
		.amdhsa_float_denorm_mode_32 3
		.amdhsa_float_denorm_mode_16_64 3
		.amdhsa_dx10_clamp 1
		.amdhsa_ieee_mode 1
		.amdhsa_fp16_overflow 0
		.amdhsa_workgroup_processor_mode 1
		.amdhsa_memory_ordered 1
		.amdhsa_forward_progress 0
		.amdhsa_shared_vgpr_count 0
		.amdhsa_exception_fp_ieee_invalid_op 0
		.amdhsa_exception_fp_denorm_src 0
		.amdhsa_exception_fp_ieee_div_zero 0
		.amdhsa_exception_fp_ieee_overflow 0
		.amdhsa_exception_fp_ieee_underflow 0
		.amdhsa_exception_fp_ieee_inexact 0
		.amdhsa_exception_int_div_zero 0
	.end_amdhsa_kernel
	.text
.Lfunc_end0:
	.size	bluestein_single_back_len1309_dim1_sp_op_CI_CI, .Lfunc_end0-bluestein_single_back_len1309_dim1_sp_op_CI_CI
                                        ; -- End function
	.section	.AMDGPU.csdata,"",@progbits
; Kernel info:
; codeLenInByte = 22212
; NumSgprs: 18
; NumVgprs: 240
; ScratchSize: 0
; MemoryBound: 0
; FloatMode: 240
; IeeeMode: 1
; LDSByteSize: 10472 bytes/workgroup (compile time only)
; SGPRBlocks: 2
; VGPRBlocks: 29
; NumSGPRsForWavesPerEU: 18
; NumVGPRsForWavesPerEU: 240
; Occupancy: 4
; WaveLimiterHint : 1
; COMPUTE_PGM_RSRC2:SCRATCH_EN: 0
; COMPUTE_PGM_RSRC2:USER_SGPR: 6
; COMPUTE_PGM_RSRC2:TRAP_HANDLER: 0
; COMPUTE_PGM_RSRC2:TGID_X_EN: 1
; COMPUTE_PGM_RSRC2:TGID_Y_EN: 0
; COMPUTE_PGM_RSRC2:TGID_Z_EN: 0
; COMPUTE_PGM_RSRC2:TIDIG_COMP_CNT: 0
	.text
	.p2alignl 6, 3214868480
	.fill 48, 4, 3214868480
	.type	__hip_cuid_214b209a051a0d49,@object ; @__hip_cuid_214b209a051a0d49
	.section	.bss,"aw",@nobits
	.globl	__hip_cuid_214b209a051a0d49
__hip_cuid_214b209a051a0d49:
	.byte	0                               ; 0x0
	.size	__hip_cuid_214b209a051a0d49, 1

	.ident	"AMD clang version 19.0.0git (https://github.com/RadeonOpenCompute/llvm-project roc-6.4.0 25133 c7fe45cf4b819c5991fe208aaa96edf142730f1d)"
	.section	".note.GNU-stack","",@progbits
	.addrsig
	.addrsig_sym __hip_cuid_214b209a051a0d49
	.amdgpu_metadata
---
amdhsa.kernels:
  - .args:
      - .actual_access:  read_only
        .address_space:  global
        .offset:         0
        .size:           8
        .value_kind:     global_buffer
      - .actual_access:  read_only
        .address_space:  global
        .offset:         8
        .size:           8
        .value_kind:     global_buffer
      - .actual_access:  read_only
        .address_space:  global
        .offset:         16
        .size:           8
        .value_kind:     global_buffer
      - .actual_access:  read_only
        .address_space:  global
        .offset:         24
        .size:           8
        .value_kind:     global_buffer
      - .actual_access:  read_only
        .address_space:  global
        .offset:         32
        .size:           8
        .value_kind:     global_buffer
      - .offset:         40
        .size:           8
        .value_kind:     by_value
      - .address_space:  global
        .offset:         48
        .size:           8
        .value_kind:     global_buffer
      - .address_space:  global
        .offset:         56
        .size:           8
        .value_kind:     global_buffer
      - .address_space:  global
        .offset:         64
        .size:           8
        .value_kind:     global_buffer
      - .address_space:  global
        .offset:         72
        .size:           8
        .value_kind:     global_buffer
      - .offset:         80
        .size:           4
        .value_kind:     by_value
      - .address_space:  global
        .offset:         88
        .size:           8
        .value_kind:     global_buffer
      - .address_space:  global
        .offset:         96
        .size:           8
        .value_kind:     global_buffer
    .group_segment_fixed_size: 10472
    .kernarg_segment_align: 8
    .kernarg_segment_size: 104
    .language:       OpenCL C
    .language_version:
      - 2
      - 0
    .max_flat_workgroup_size: 119
    .name:           bluestein_single_back_len1309_dim1_sp_op_CI_CI
    .private_segment_fixed_size: 0
    .sgpr_count:     18
    .sgpr_spill_count: 0
    .symbol:         bluestein_single_back_len1309_dim1_sp_op_CI_CI.kd
    .uniform_work_group_size: 1
    .uses_dynamic_stack: false
    .vgpr_count:     240
    .vgpr_spill_count: 0
    .wavefront_size: 32
    .workgroup_processor_mode: 1
amdhsa.target:   amdgcn-amd-amdhsa--gfx1030
amdhsa.version:
  - 1
  - 2
...

	.end_amdgpu_metadata
